;; amdgpu-corpus repo=ROCm/rocFFT kind=compiled arch=gfx906 opt=O3
	.text
	.amdgcn_target "amdgcn-amd-amdhsa--gfx906"
	.amdhsa_code_object_version 6
	.protected	bluestein_single_back_len187_dim1_sp_op_CI_CI ; -- Begin function bluestein_single_back_len187_dim1_sp_op_CI_CI
	.globl	bluestein_single_back_len187_dim1_sp_op_CI_CI
	.p2align	8
	.type	bluestein_single_back_len187_dim1_sp_op_CI_CI,@function
bluestein_single_back_len187_dim1_sp_op_CI_CI: ; @bluestein_single_back_len187_dim1_sp_op_CI_CI
; %bb.0:
	v_mul_u32_u24_e32 v1, 0xf10, v0
	s_load_dwordx4 s[0:3], s[4:5], 0x28
	v_lshrrev_b32_e32 v1, 16, v1
	v_mad_u64_u32 v[52:53], s[6:7], s6, 7, v[1:2]
	v_mov_b32_e32 v53, 0
	s_waitcnt lgkmcnt(0)
	v_cmp_gt_u64_e32 vcc, s[0:1], v[52:53]
	s_and_saveexec_b64 s[0:1], vcc
	s_cbranch_execz .LBB0_15
; %bb.1:
	s_mov_b32 s0, 0x24924925
	v_mul_hi_u32 v2, v52, s0
	s_load_dwordx2 s[6:7], s[4:5], 0x0
	s_load_dwordx2 s[12:13], s[4:5], 0x38
	v_mul_lo_u16_e32 v1, 17, v1
	v_sub_u16_e32 v67, v0, v1
	v_sub_u32_e32 v3, v52, v2
	v_lshrrev_b32_e32 v3, 1, v3
	v_add_u32_e32 v2, v3, v2
	v_lshrrev_b32_e32 v2, 2, v2
	v_mul_lo_u32 v2, v2, 7
	v_cmp_gt_u16_e32 vcc, 11, v67
	v_lshlrev_b32_e32 v68, 3, v67
	v_sub_u32_e32 v0, v52, v2
	v_mul_u32_u24_e32 v44, 0xbb, v0
	v_lshlrev_b32_e32 v69, 3, v44
	s_and_saveexec_b64 s[14:15], vcc
	s_cbranch_execz .LBB0_3
; %bb.2:
	s_load_dwordx2 s[0:1], s[4:5], 0x18
	v_or_b32_e32 v65, 0xb0, v67
	s_waitcnt lgkmcnt(0)
	s_load_dwordx4 s[8:11], s[0:1], 0x0
	s_waitcnt lgkmcnt(0)
	v_mad_u64_u32 v[0:1], s[0:1], s10, v52, 0
	v_mad_u64_u32 v[2:3], s[0:1], s8, v67, 0
	;; [unrolled: 1-line block ×4, first 2 shown]
	v_mov_b32_e32 v1, v4
	v_lshlrev_b64 v[0:1], 3, v[0:1]
	v_mov_b32_e32 v3, v5
	v_mov_b32_e32 v6, s3
	v_lshlrev_b64 v[2:3], 3, v[2:3]
	v_add_co_u32_e64 v76, s[0:1], s2, v0
	v_addc_co_u32_e64 v77, s[0:1], v6, v1, s[0:1]
	v_add_co_u32_e64 v0, s[0:1], v76, v2
	v_addc_co_u32_e64 v1, s[0:1], v77, v3, s[0:1]
	s_mul_i32 s0, s9, 0x58
	s_mul_hi_u32 s3, s8, 0x58
	s_add_i32 s3, s3, s0
	s_mul_i32 s2, s8, 0x58
	v_mov_b32_e32 v3, s3
	v_add_co_u32_e64 v2, s[0:1], s2, v0
	v_addc_co_u32_e64 v3, s[0:1], v1, v3, s[0:1]
	v_mov_b32_e32 v5, s3
	v_add_co_u32_e64 v4, s[0:1], s2, v2
	v_addc_co_u32_e64 v5, s[0:1], v3, v5, s[0:1]
	;; [unrolled: 3-line block ×3, first 2 shown]
	global_load_dwordx2 v[8:9], v[0:1], off
	global_load_dwordx2 v[10:11], v[2:3], off
	global_load_dwordx2 v[12:13], v[4:5], off
	global_load_dwordx2 v[14:15], v[6:7], off
	global_load_dwordx2 v[16:17], v68, s[6:7]
	global_load_dwordx2 v[18:19], v68, s[6:7] offset:88
	global_load_dwordx2 v[20:21], v68, s[6:7] offset:176
	;; [unrolled: 1-line block ×3, first 2 shown]
	v_mov_b32_e32 v1, s3
	v_add_co_u32_e64 v0, s[0:1], s2, v6
	v_addc_co_u32_e64 v1, s[0:1], v7, v1, s[0:1]
	global_load_dwordx2 v[2:3], v[0:1], off
	v_mov_b32_e32 v4, s3
	v_add_co_u32_e64 v0, s[0:1], s2, v0
	v_addc_co_u32_e64 v1, s[0:1], v1, v4, s[0:1]
	global_load_dwordx2 v[4:5], v[0:1], off
	;; [unrolled: 4-line block ×4, first 2 shown]
	global_load_dwordx2 v[26:27], v68, s[6:7] offset:352
	global_load_dwordx2 v[28:29], v68, s[6:7] offset:440
	;; [unrolled: 1-line block ×4, first 2 shown]
	v_mov_b32_e32 v34, s3
	v_add_co_u32_e64 v0, s[0:1], s2, v0
	v_addc_co_u32_e64 v1, s[0:1], v1, v34, s[0:1]
	global_load_dwordx2 v[34:35], v[0:1], off
	v_mov_b32_e32 v36, s3
	v_add_co_u32_e64 v0, s[0:1], s2, v0
	v_addc_co_u32_e64 v1, s[0:1], v1, v36, s[0:1]
	global_load_dwordx2 v[36:37], v[0:1], off
	;; [unrolled: 4-line block ×4, first 2 shown]
	global_load_dwordx2 v[42:43], v68, s[6:7] offset:704
	global_load_dwordx2 v[45:46], v68, s[6:7] offset:792
	;; [unrolled: 1-line block ×4, first 2 shown]
	v_mov_b32_e32 v51, s3
	v_add_co_u32_e64 v0, s[0:1], s2, v0
	v_addc_co_u32_e64 v1, s[0:1], v1, v51, s[0:1]
	global_load_dwordx2 v[53:54], v[0:1], off
	global_load_dwordx2 v[55:56], v68, s[6:7] offset:1056
	v_add_co_u32_e64 v0, s[0:1], s2, v0
	v_addc_co_u32_e64 v1, s[0:1], v1, v51, s[0:1]
	global_load_dwordx2 v[57:58], v[0:1], off
	v_add_co_u32_e64 v0, s[0:1], s2, v0
	v_addc_co_u32_e64 v1, s[0:1], v1, v51, s[0:1]
	v_mad_u64_u32 v[61:62], s[0:1], s8, v65, 0
	global_load_dwordx2 v[59:60], v[0:1], off
	v_add_co_u32_e64 v0, s[0:1], s2, v0
	v_addc_co_u32_e64 v1, s[0:1], v1, v51, s[0:1]
	v_mov_b32_e32 v51, v62
	v_mad_u64_u32 v[65:66], s[0:1], s9, v65, v[51:52]
	global_load_dwordx2 v[63:64], v68, s[6:7] offset:1144
	global_load_dwordx2 v[70:71], v[0:1], off
	global_load_dwordx2 v[72:73], v68, s[6:7] offset:1232
	global_load_dwordx2 v[74:75], v68, s[6:7] offset:1320
	v_mov_b32_e32 v62, v65
	v_lshlrev_b64 v[0:1], 3, v[61:62]
	v_lshl_add_u32 v51, v67, 3, v69
	v_add_co_u32_e64 v0, s[0:1], v76, v0
	v_addc_co_u32_e64 v1, s[0:1], v77, v1, s[0:1]
	global_load_dwordx2 v[61:62], v[0:1], off
	global_load_dwordx2 v[65:66], v68, s[6:7] offset:1408
	s_waitcnt vmcnt(29)
	v_mul_f32_e32 v0, v9, v17
	v_mul_f32_e32 v1, v8, v17
	v_fmac_f32_e32 v0, v8, v16
	v_fma_f32 v1, v9, v16, -v1
	ds_write_b64 v51, v[0:1]
	s_waitcnt vmcnt(28)
	v_mul_f32_e32 v0, v11, v19
	v_mul_f32_e32 v1, v10, v19
	s_waitcnt vmcnt(27)
	v_mul_f32_e32 v8, v13, v21
	v_mul_f32_e32 v9, v12, v21
	v_fmac_f32_e32 v0, v10, v18
	v_add_u32_e32 v16, v69, v68
	v_fma_f32 v1, v11, v18, -v1
	v_fmac_f32_e32 v8, v12, v20
	v_fma_f32 v9, v13, v20, -v9
	ds_write2_b64 v16, v[0:1], v[8:9] offset0:11 offset1:22
	s_waitcnt vmcnt(26)
	v_mul_f32_e32 v0, v15, v23
	v_mul_f32_e32 v1, v14, v23
	s_waitcnt vmcnt(21)
	v_mul_f32_e32 v8, v3, v27
	v_fmac_f32_e32 v8, v2, v26
	v_mul_f32_e32 v2, v2, v27
	v_fmac_f32_e32 v0, v14, v22
	v_fma_f32 v1, v15, v22, -v1
	v_fma_f32 v9, v3, v26, -v2
	ds_write2_b64 v16, v[0:1], v[8:9] offset0:33 offset1:44
	s_waitcnt vmcnt(20)
	v_mul_f32_e32 v0, v5, v29
	v_mul_f32_e32 v1, v4, v29
	s_waitcnt vmcnt(19)
	v_mul_f32_e32 v2, v7, v31
	v_mul_f32_e32 v3, v6, v31
	v_fmac_f32_e32 v0, v4, v28
	v_fma_f32 v1, v5, v28, -v1
	v_fmac_f32_e32 v2, v6, v30
	v_fma_f32 v3, v7, v30, -v3
	ds_write2_b64 v16, v[0:1], v[2:3] offset0:55 offset1:66
	s_waitcnt vmcnt(18)
	v_mul_f32_e32 v0, v25, v33
	v_mul_f32_e32 v1, v24, v33
	v_fmac_f32_e32 v0, v24, v32
	v_fma_f32 v1, v25, v32, -v1
	s_waitcnt vmcnt(13)
	v_mul_f32_e32 v2, v35, v43
	v_mul_f32_e32 v3, v34, v43
	v_fmac_f32_e32 v2, v34, v42
	v_fma_f32 v3, v35, v42, -v3
	ds_write2_b64 v16, v[0:1], v[2:3] offset0:77 offset1:88
	s_waitcnt vmcnt(12)
	v_mul_f32_e32 v0, v37, v46
	v_mul_f32_e32 v1, v36, v46
	s_waitcnt vmcnt(11)
	v_mul_f32_e32 v2, v39, v48
	v_mul_f32_e32 v3, v38, v48
	v_fmac_f32_e32 v0, v36, v45
	v_fma_f32 v1, v37, v45, -v1
	v_fmac_f32_e32 v2, v38, v47
	v_fma_f32 v3, v39, v47, -v3
	ds_write2_b64 v16, v[0:1], v[2:3] offset0:99 offset1:110
	s_waitcnt vmcnt(10)
	v_mul_f32_e32 v0, v41, v50
	v_mul_f32_e32 v1, v40, v50
	s_waitcnt vmcnt(8)
	v_mul_f32_e32 v2, v54, v56
	v_mul_f32_e32 v3, v53, v56
	v_fmac_f32_e32 v0, v40, v49
	v_fma_f32 v1, v41, v49, -v1
	;; [unrolled: 11-line block ×4, first 2 shown]
	v_fmac_f32_e32 v2, v61, v65
	v_fma_f32 v3, v62, v65, -v3
	ds_write2_b64 v16, v[0:1], v[2:3] offset0:165 offset1:176
.LBB0_3:
	s_or_b64 exec, exec, s[14:15]
	s_load_dwordx2 s[0:1], s[4:5], 0x20
	s_load_dwordx2 s[8:9], s[4:5], 0x8
	v_mov_b32_e32 v12, 0
	v_mov_b32_e32 v13, 0
	s_waitcnt lgkmcnt(0)
	s_barrier
	s_waitcnt lgkmcnt(0)
                                        ; implicit-def: $vgpr18
                                        ; implicit-def: $vgpr20
                                        ; implicit-def: $vgpr36
                                        ; implicit-def: $vgpr40
                                        ; implicit-def: $vgpr8
                                        ; implicit-def: $vgpr34
                                        ; implicit-def: $vgpr30
                                        ; implicit-def: $vgpr26
	s_and_saveexec_b64 s[2:3], vcc
	s_cbranch_execz .LBB0_5
; %bb.4:
	v_lshl_add_u32 v0, v44, 3, v68
	ds_read2_b64 v[12:15], v0 offset1:11
	ds_read2_b64 v[24:27], v0 offset0:22 offset1:33
	ds_read2_b64 v[28:31], v0 offset0:44 offset1:55
	;; [unrolled: 1-line block ×7, first 2 shown]
	ds_read_b64 v[8:9], v0 offset:1408
.LBB0_5:
	s_or_b64 exec, exec, s[2:3]
	s_waitcnt lgkmcnt(0)
	v_sub_f32_e32 v80, v15, v9
	v_mul_f32_e32 v50, 0xbeb8f4ab, v80
	v_sub_f32_e32 v84, v25, v43
	v_add_f32_e32 v45, v8, v14
	v_sub_f32_e32 v82, v14, v8
	v_mov_b32_e32 v0, v50
	v_mul_f32_e32 v58, 0xbf2c7751, v84
	v_add_f32_e32 v46, v9, v15
	s_mov_b32 s4, 0x3f6eb680
	v_mul_f32_e32 v55, 0xbeb8f4ab, v82
	v_fmac_f32_e32 v0, 0x3f6eb680, v45
	v_add_f32_e32 v47, v42, v24
	v_sub_f32_e32 v86, v24, v42
	v_mov_b32_e32 v2, v58
	v_add_f32_e32 v0, v0, v12
	v_fma_f32 v1, v46, s4, -v55
	s_mov_b32 s5, 0x3f3d2fb0
	v_add_f32_e32 v48, v43, v25
	v_mul_f32_e32 v59, 0xbf2c7751, v86
	v_fmac_f32_e32 v2, 0x3f3d2fb0, v47
	v_sub_f32_e32 v88, v27, v41
	v_add_f32_e32 v1, v1, v13
	v_add_f32_e32 v0, v2, v0
	v_fma_f32 v2, v48, s5, -v59
	v_mul_f32_e32 v62, 0xbf65296c, v88
	v_add_f32_e32 v1, v2, v1
	v_add_f32_e32 v49, v40, v26
	v_sub_f32_e32 v89, v26, v40
	v_mov_b32_e32 v2, v62
	s_mov_b32 s10, 0x3ee437d1
	v_add_f32_e32 v51, v41, v27
	v_mul_f32_e32 v63, 0xbf65296c, v89
	v_fmac_f32_e32 v2, 0x3ee437d1, v49
	v_sub_f32_e32 v93, v29, v39
	v_add_f32_e32 v0, v2, v0
	v_fma_f32 v2, v51, s10, -v63
	v_mul_f32_e32 v66, 0xbf7ee86f, v93
	v_add_f32_e32 v1, v2, v1
	v_add_f32_e32 v56, v38, v28
	v_sub_f32_e32 v103, v28, v38
	v_mov_b32_e32 v2, v66
	s_mov_b32 s14, 0x3dbcf732
	v_add_f32_e32 v57, v39, v29
	v_mul_f32_e32 v71, 0xbf7ee86f, v103
	v_fmac_f32_e32 v2, 0x3dbcf732, v56
	v_sub_f32_e32 v107, v31, v37
	;; [unrolled: 12-line block ×5, first 2 shown]
	v_add_f32_e32 v0, v2, v0
	v_fma_f32 v2, v73, s17, -v83
	v_mul_f32_e32 v85, 0xbe3c28d5, v132
	v_add_f32_e32 v1, v2, v1
	v_add_f32_e32 v75, v18, v16
	v_mov_b32_e32 v2, v85
	v_sub_f32_e32 v143, v16, v18
	s_mov_b32 s16, 0xbf7ba420
	v_fmac_f32_e32 v2, 0xbf7ba420, v75
	v_add_f32_e32 v78, v19, v17
	v_mul_f32_e32 v87, 0xbe3c28d5, v143
	v_add_f32_e32 v53, v2, v0
	v_fma_f32 v0, v78, s16, -v87
	v_mul_f32_e32 v90, 0xbf2c7751, v80
	v_add_f32_e32 v54, v0, v1
	v_mov_b32_e32 v0, v90
	v_mul_f32_e32 v91, 0xbf7ee86f, v84
	v_fmac_f32_e32 v0, 0x3f3d2fb0, v45
	v_mov_b32_e32 v1, v91
	v_add_f32_e32 v0, v0, v12
	v_fmac_f32_e32 v1, 0x3dbcf732, v47
	v_mul_f32_e32 v96, 0xbf2c7751, v82
	v_add_f32_e32 v0, v1, v0
	v_fma_f32 v1, v46, s5, -v96
	v_mul_f32_e32 v97, 0xbf7ee86f, v86
	v_add_f32_e32 v1, v1, v13
	v_fma_f32 v2, v48, s14, -v97
	v_mul_f32_e32 v92, 0xbf4c4adb, v88
	v_add_f32_e32 v1, v2, v1
	v_mov_b32_e32 v2, v92
	v_fmac_f32_e32 v2, 0xbf1a4643, v49
	v_mul_f32_e32 v99, 0xbf4c4adb, v89
	v_add_f32_e32 v0, v2, v0
	v_fma_f32 v2, v51, s15, -v99
	v_mul_f32_e32 v94, 0xbe3c28d5, v93
	v_add_f32_e32 v1, v2, v1
	v_mov_b32_e32 v2, v94
	v_fmac_f32_e32 v2, 0xbf7ba420, v56
	;; [unrolled: 7-line block ×6, first 2 shown]
	v_mul_f32_e32 v108, 0x3eb8f4ab, v143
	v_mul_f32_e32 v110, 0xbf65296c, v80
	v_fma_f32 v3, v78, s4, -v108
	v_add_f32_e32 v2, v2, v0
	v_mov_b32_e32 v0, v110
	v_mul_f32_e32 v111, 0xbf4c4adb, v84
	v_add_f32_e32 v3, v3, v1
	v_fmac_f32_e32 v0, 0x3ee437d1, v45
	v_mov_b32_e32 v1, v111
	v_add_f32_e32 v0, v0, v12
	v_fmac_f32_e32 v1, 0xbf1a4643, v47
	v_mul_f32_e32 v112, 0x3e3c28d5, v88
	v_add_f32_e32 v0, v1, v0
	v_mov_b32_e32 v1, v112
	v_fmac_f32_e32 v1, 0xbf7ba420, v49
	v_mul_f32_e32 v113, 0x3f763a35, v93
	v_add_f32_e32 v0, v1, v0
	v_mov_b32_e32 v1, v113
	;; [unrolled: 4-line block ×6, first 2 shown]
	v_fmac_f32_e32 v1, 0xbf59a7d5, v75
	v_mul_f32_e32 v120, 0xbf65296c, v82
	v_add_f32_e32 v0, v1, v0
	v_fma_f32 v1, v46, s10, -v120
	v_mul_f32_e32 v121, 0xbf4c4adb, v86
	v_add_f32_e32 v1, v1, v13
	v_fma_f32 v4, v48, s15, -v121
	v_mul_f32_e32 v122, 0x3e3c28d5, v89
	v_add_f32_e32 v1, v4, v1
	v_fma_f32 v4, v51, s16, -v122
	v_mul_f32_e32 v124, 0x3f763a35, v103
	v_add_f32_e32 v1, v4, v1
	v_fma_f32 v4, v57, s11, -v124
	v_mul_f32_e32 v125, 0x3f2c7751, v109
	v_add_f32_e32 v1, v4, v1
	v_fma_f32 v4, v61, s5, -v125
	v_mul_f32_e32 v126, 0xbeb8f4ab, v119
	v_add_f32_e32 v1, v4, v1
	v_fma_f32 v4, v65, s4, -v126
	v_mul_f32_e32 v127, 0xbf7ee86f, v129
	v_add_f32_e32 v1, v4, v1
	v_fma_f32 v4, v73, s14, -v127
	v_mul_f32_e32 v128, 0xbf06c442, v143
	v_add_f32_e32 v1, v4, v1
	v_fma_f32 v4, v78, s17, -v128
	v_mul_f32_e32 v130, 0xbf7ee86f, v80
	v_add_f32_e32 v1, v4, v1
	v_mov_b32_e32 v4, v130
	v_mul_f32_e32 v131, 0xbe3c28d5, v84
	v_fmac_f32_e32 v4, 0x3dbcf732, v45
	v_mov_b32_e32 v5, v131
	v_add_f32_e32 v4, v4, v12
	v_fmac_f32_e32 v5, 0xbf7ba420, v47
	v_mul_f32_e32 v136, 0xbf7ee86f, v82
	v_add_f32_e32 v4, v5, v4
	v_fma_f32 v5, v46, s14, -v136
	v_mul_f32_e32 v137, 0xbe3c28d5, v86
	v_add_f32_e32 v5, v5, v13
	v_fma_f32 v6, v48, s16, -v137
	v_mul_f32_e32 v133, 0x3f763a35, v88
	v_add_f32_e32 v5, v6, v5
	v_mov_b32_e32 v6, v133
	v_fmac_f32_e32 v6, 0xbe8c1d8e, v49
	v_mul_f32_e32 v139, 0x3f763a35, v89
	v_add_f32_e32 v4, v6, v4
	v_fma_f32 v6, v51, s11, -v139
	v_mul_f32_e32 v134, 0x3eb8f4ab, v93
	v_add_f32_e32 v5, v6, v5
	v_mov_b32_e32 v6, v134
	v_fmac_f32_e32 v6, 0x3f6eb680, v56
	;; [unrolled: 7-line block ×6, first 2 shown]
	v_mul_f32_e32 v147, 0x3f2c7751, v143
	v_mul_f32_e32 v148, 0xbf763a35, v80
	v_fma_f32 v7, v78, s5, -v147
	v_add_f32_e32 v6, v6, v4
	v_mov_b32_e32 v4, v148
	v_mul_f32_e32 v149, 0x3f06c442, v84
	v_add_f32_e32 v7, v7, v5
	v_fmac_f32_e32 v4, 0xbe8c1d8e, v45
	v_mov_b32_e32 v5, v149
	v_add_f32_e32 v4, v4, v12
	v_fmac_f32_e32 v5, 0xbf59a7d5, v47
	v_mul_f32_e32 v150, 0x3f2c7751, v88
	v_add_f32_e32 v4, v5, v4
	v_mov_b32_e32 v5, v150
	v_fmac_f32_e32 v5, 0x3f3d2fb0, v49
	v_mul_f32_e32 v151, 0xbf65296c, v93
	v_add_f32_e32 v4, v5, v4
	v_mov_b32_e32 v5, v151
	;; [unrolled: 4-line block ×6, first 2 shown]
	v_fmac_f32_e32 v5, 0xbf1a4643, v75
	v_mul_f32_e32 v162, 0xbf763a35, v82
	v_add_f32_e32 v4, v5, v4
	v_fma_f32 v5, v46, s11, -v162
	v_mul_f32_e32 v163, 0x3f06c442, v86
	v_add_f32_e32 v5, v5, v13
	v_fma_f32 v10, v48, s17, -v163
	;; [unrolled: 3-line block ×8, first 2 shown]
	v_mul_f32_e32 v164, 0xbf4c4adb, v80
	v_add_f32_e32 v5, v10, v5
	v_mov_b32_e32 v10, v164
	v_mul_f32_e32 v165, 0x3f763a35, v84
	v_fmac_f32_e32 v10, 0xbf1a4643, v45
	v_mov_b32_e32 v11, v165
	v_add_f32_e32 v10, v10, v12
	v_fmac_f32_e32 v11, 0xbe8c1d8e, v47
	v_mul_f32_e32 v172, 0xbf4c4adb, v82
	v_add_f32_e32 v10, v11, v10
	v_fma_f32 v11, v46, s15, -v172
	v_mul_f32_e32 v173, 0x3f763a35, v86
	v_add_f32_e32 v11, v11, v13
	v_fma_f32 v70, v48, s11, -v173
	v_mul_f32_e32 v166, 0xbeb8f4ab, v88
	v_add_f32_e32 v11, v70, v11
	v_mov_b32_e32 v70, v166
	v_fmac_f32_e32 v70, 0x3f6eb680, v49
	v_mul_f32_e32 v174, 0xbeb8f4ab, v89
	v_add_f32_e32 v10, v70, v10
	v_fma_f32 v70, v51, s4, -v174
	v_mul_f32_e32 v167, 0xbf06c442, v93
	v_add_f32_e32 v11, v70, v11
	v_mov_b32_e32 v70, v167
	v_fmac_f32_e32 v70, 0xbf59a7d5, v56
	;; [unrolled: 7-line block ×5, first 2 shown]
	v_mul_f32_e32 v178, 0xbe3c28d5, v129
	v_add_f32_e32 v10, v70, v10
	v_fma_f32 v70, v73, s16, -v178
	v_mul_f32_e32 v171, 0x3f65296c, v132
	v_add_f32_e32 v11, v70, v11
	v_mov_b32_e32 v70, v171
	v_mul_f32_e32 v179, 0x3f65296c, v143
	v_fmac_f32_e32 v70, 0x3ee437d1, v75
	v_fma_f32 v180, v78, s10, -v179
	v_add_f32_e32 v10, v70, v10
	v_add_f32_e32 v11, v180, v11
	v_mul_lo_u16_e32 v70, 17, v67
	s_barrier
	s_and_saveexec_b64 s[2:3], vcc
	s_cbranch_execz .LBB0_7
; %bb.6:
	v_mul_f32_e32 v234, 0xbe3c28d5, v82
	v_mov_b32_e32 v180, v234
	v_mul_f32_e32 v235, 0x3eb8f4ab, v86
	v_fmac_f32_e32 v180, 0xbf7ba420, v46
	v_mov_b32_e32 v181, v235
	v_add_f32_e32 v180, v180, v13
	v_fmac_f32_e32 v181, 0x3f6eb680, v48
	v_mul_f32_e32 v236, 0xbf06c442, v89
	v_add_f32_e32 v180, v181, v180
	v_mov_b32_e32 v181, v236
	v_fmac_f32_e32 v181, 0xbf59a7d5, v51
	v_mul_f32_e32 v237, 0x3f2c7751, v103
	v_add_f32_e32 v180, v181, v180
	v_mov_b32_e32 v181, v237
	;; [unrolled: 4-line block ×6, first 2 shown]
	v_fmac_f32_e32 v181, 0x3dbcf732, v78
	v_mul_f32_e32 v242, 0xbe3c28d5, v80
	v_add_f32_e32 v181, v181, v180
	v_fma_f32 v180, v45, s16, -v242
	v_mul_f32_e32 v243, 0x3eb8f4ab, v84
	v_add_f32_e32 v180, v180, v12
	v_fma_f32 v244, v47, s4, -v243
	v_add_f32_e32 v180, v244, v180
	v_mul_f32_e32 v244, 0xbf06c442, v88
	v_fma_f32 v245, v49, s17, -v244
	v_add_f32_e32 v180, v245, v180
	v_mul_f32_e32 v245, 0x3f2c7751, v93
	;; [unrolled: 3-line block ×6, first 2 shown]
	v_fma_f32 v250, v75, s14, -v249
	v_mul_f32_e32 v82, 0xbf06c442, v82
	v_add_f32_e32 v180, v250, v180
	v_mov_b32_e32 v250, v82
	v_mul_f32_e32 v86, 0x3f65296c, v86
	v_fmac_f32_e32 v250, 0xbf59a7d5, v46
	v_mov_b32_e32 v251, v86
	v_add_f32_e32 v250, v250, v13
	v_fmac_f32_e32 v251, 0x3ee437d1, v48
	v_add_f32_e32 v250, v251, v250
	v_mul_f32_e32 v251, 0xbf7ee86f, v89
	v_mov_b32_e32 v89, v251
	v_fmac_f32_e32 v89, 0x3dbcf732, v51
	v_mul_f32_e32 v103, 0x3f4c4adb, v103
	v_add_f32_e32 v89, v89, v250
	v_mov_b32_e32 v250, v103
	v_fmac_f32_e32 v250, 0xbf1a4643, v57
	v_mul_f32_e32 v109, 0xbeb8f4ab, v109
	v_add_f32_e32 v89, v250, v89
	;; [unrolled: 4-line block ×3, first 2 shown]
	v_mov_b32_e32 v250, v119
	v_add_f32_e32 v14, v14, v12
	v_fmac_f32_e32 v250, 0xbf7ba420, v65
	v_mul_f32_e32 v129, 0x3f2c7751, v129
	v_add_f32_e32 v15, v15, v13
	v_add_f32_e32 v14, v24, v14
	;; [unrolled: 1-line block ×3, first 2 shown]
	v_mov_b32_e32 v250, v129
	v_add_f32_e32 v15, v25, v15
	v_add_f32_e32 v14, v26, v14
	v_fmac_f32_e32 v250, 0x3f3d2fb0, v73
	v_mul_f32_e32 v143, 0xbf763a35, v143
	v_add_f32_e32 v15, v27, v15
	v_add_f32_e32 v14, v28, v14
	v_add_f32_e32 v89, v250, v89
	v_mov_b32_e32 v250, v143
	v_add_f32_e32 v15, v29, v15
	v_add_f32_e32 v14, v30, v14
	v_fmac_f32_e32 v250, 0xbe8c1d8e, v78
	v_mul_f32_e32 v80, 0xbf06c442, v80
	v_add_f32_e32 v15, v31, v15
	v_add_f32_e32 v14, v32, v14
	v_mul_f32_e32 v193, 0xbf1a4643, v46
	v_add_f32_e32 v89, v250, v89
	v_fma_f32 v250, v45, s17, -v80
	v_mul_f32_e32 v84, 0x3f65296c, v84
	v_add_f32_e32 v15, v33, v15
	v_add_f32_e32 v14, v34, v14
	v_mul_f32_e32 v205, 0xbe8c1d8e, v48
	v_add_f32_e32 v250, v250, v12
	v_fma_f32 v252, v47, s10, -v84
	v_mul_f32_e32 v254, 0xbf763a35, v132
	v_add_f32_e32 v132, v172, v193
	v_add_f32_e32 v15, v35, v15
	;; [unrolled: 1-line block ×3, first 2 shown]
	v_mul_f32_e32 v217, 0x3f6eb680, v51
	v_add_f32_e32 v250, v252, v250
	v_mul_f32_e32 v252, 0xbf7ee86f, v88
	v_add_f32_e32 v173, v173, v205
	v_add_f32_e32 v132, v132, v13
	;; [unrolled: 1-line block ×4, first 2 shown]
	v_mul_f32_e32 v229, 0xbf59a7d5, v57
	v_fma_f32 v88, v49, s14, -v252
	v_add_f32_e32 v132, v173, v132
	v_add_f32_e32 v174, v174, v217
	;; [unrolled: 1-line block ×5, first 2 shown]
	v_mul_f32_e32 v250, 0x3f4c4adb, v93
	v_add_f32_e32 v132, v174, v132
	v_add_f32_e32 v175, v175, v229
	v_mul_f32_e32 v217, 0x3dbcf732, v61
	v_add_f32_e32 v15, v21, v15
	v_add_f32_e32 v14, v22, v14
	v_fma_f32 v93, v56, s15, -v250
	v_mul_f32_e32 v107, 0xbeb8f4ab, v107
	v_add_f32_e32 v132, v175, v132
	v_add_f32_e32 v176, v176, v217
	;; [unrolled: 1-line block ×4, first 2 shown]
	v_mul_f32_e32 v186, 0x3ee437d1, v45
	v_mul_f32_e32 v192, 0xbf1a4643, v45
	v_add_f32_e32 v88, v93, v88
	v_fma_f32 v93, v60, s4, -v107
	v_mul_f32_e32 v253, 0xbe3c28d5, v115
	v_add_f32_e32 v132, v176, v132
	v_mul_f32_e32 v176, 0x3f3d2fb0, v65
	v_add_f32_e32 v15, v37, v15
	v_add_f32_e32 v14, v38, v14
	v_mul_f32_e32 v183, 0x3f6eb680, v46
	v_mul_f32_e32 v198, 0xbf1a4643, v47
	;; [unrolled: 1-line block ×3, first 2 shown]
	v_add_f32_e32 v88, v93, v88
	v_fma_f32 v93, v64, s16, -v253
	v_mul_f32_e32 v123, 0x3f2c7751, v123
	v_add_f32_e32 v176, v177, v176
	v_sub_f32_e32 v164, v192, v164
	v_sub_f32_e32 v110, v186, v110
	v_add_f32_e32 v15, v39, v15
	v_add_f32_e32 v14, v40, v14
	v_mul_f32_e32 v191, 0xbe8c1d8e, v46
	v_mul_f32_e32 v195, 0x3f3d2fb0, v48
	;; [unrolled: 1-line block ×4, first 2 shown]
	v_add_f32_e32 v88, v93, v88
	v_fma_f32 v93, v72, s5, -v123
	v_add_f32_e32 v132, v176, v132
	v_mul_f32_e32 v176, 0xbf7ba420, v73
	v_sub_f32_e32 v165, v204, v165
	v_add_f32_e32 v164, v164, v12
	v_add_f32_e32 v110, v110, v12
	v_sub_f32_e32 v111, v198, v111
	v_add_f32_e32 v55, v55, v183
	v_add_f32_e32 v15, v41, v15
	;; [unrolled: 1-line block ×3, first 2 shown]
	v_mul_f32_e32 v203, 0xbf59a7d5, v48
	v_mul_f32_e32 v207, 0x3ee437d1, v51
	;; [unrolled: 1-line block ×4, first 2 shown]
	v_add_f32_e32 v88, v93, v88
	v_fma_f32 v93, v75, s11, -v254
	v_add_f32_e32 v176, v178, v176
	v_add_f32_e32 v164, v165, v164
	v_sub_f32_e32 v165, v216, v166
	v_add_f32_e32 v162, v162, v191
	v_add_f32_e32 v110, v111, v110
	v_sub_f32_e32 v111, v210, v112
	v_add_f32_e32 v55, v55, v13
	v_add_f32_e32 v59, v59, v195
	;; [unrolled: 1-line block ×4, first 2 shown]
	v_fma_f32 v14, v46, s16, -v234
	v_mul_f32_e32 v215, 0x3f3d2fb0, v51
	v_mul_f32_e32 v219, 0x3dbcf732, v57
	v_add_f32_e32 v88, v93, v88
	v_mul_f32_e32 v93, 0x3f3d2fb0, v60
	v_mul_f32_e32 v174, 0x3dbcf732, v60
	v_add_f32_e32 v132, v176, v132
	v_mul_f32_e32 v176, 0x3ee437d1, v78
	v_add_f32_e32 v164, v165, v164
	v_sub_f32_e32 v165, v228, v167
	v_add_f32_e32 v163, v163, v203
	v_add_f32_e32 v162, v162, v13
	;; [unrolled: 1-line block ×3, first 2 shown]
	v_sub_f32_e32 v111, v222, v113
	v_add_f32_e32 v55, v59, v55
	v_add_f32_e32 v59, v63, v207
	;; [unrolled: 1-line block ×4, first 2 shown]
	v_fma_f32 v15, v48, s4, -v235
	v_mul_f32_e32 v227, 0x3ee437d1, v57
	v_mul_f32_e32 v231, 0xbe8c1d8e, v61
	v_add_f32_e32 v176, v179, v176
	v_mul_f32_e32 v179, 0x3f6eb680, v64
	v_mul_f32_e32 v167, 0x3f3d2fb0, v64
	v_add_f32_e32 v164, v165, v164
	v_sub_f32_e32 v165, v174, v168
	v_add_f32_e32 v162, v163, v162
	v_add_f32_e32 v161, v161, v215
	;; [unrolled: 1-line block ×3, first 2 shown]
	v_sub_f32_e32 v93, v93, v114
	v_add_f32_e32 v55, v59, v55
	v_add_f32_e32 v59, v71, v219
	;; [unrolled: 1-line block ×3, first 2 shown]
	v_fma_f32 v15, v51, s17, -v236
	v_mul_f32_e32 v217, 0xbf1a4643, v65
	v_add_f32_e32 v164, v165, v164
	v_sub_f32_e32 v165, v167, v169
	v_mul_f32_e32 v169, 0x3dbcf732, v72
	v_add_f32_e32 v161, v161, v162
	v_add_f32_e32 v160, v160, v227
	;; [unrolled: 1-line block ×3, first 2 shown]
	v_sub_f32_e32 v110, v179, v116
	v_add_f32_e32 v55, v59, v55
	v_add_f32_e32 v59, v76, v231
	;; [unrolled: 1-line block ×3, first 2 shown]
	v_fma_f32 v15, v57, s5, -v237
	v_mul_f32_e32 v168, 0xbf59a7d5, v73
	v_add_f32_e32 v160, v160, v161
	v_mul_f32_e32 v161, 0xbf59a7d5, v75
	v_add_f32_e32 v93, v110, v93
	v_sub_f32_e32 v110, v169, v117
	v_add_f32_e32 v55, v59, v55
	v_add_f32_e32 v59, v79, v217
	;; [unrolled: 1-line block ×3, first 2 shown]
	v_fma_f32 v15, v61, s15, -v238
	v_mul_f32_e32 v182, 0x3f6eb680, v45
	v_mul_f32_e32 v185, 0x3f3d2fb0, v46
	;; [unrolled: 1-line block ×5, first 2 shown]
	v_add_f32_e32 v93, v110, v93
	v_sub_f32_e32 v110, v161, v118
	v_add_f32_e32 v55, v59, v55
	v_add_f32_e32 v59, v83, v168
	;; [unrolled: 1-line block ×3, first 2 shown]
	v_fma_f32 v15, v65, s10, -v239
	v_mul_f32_e32 v184, 0x3f3d2fb0, v45
	v_mul_f32_e32 v188, 0x3dbcf732, v45
	;; [unrolled: 1-line block ×4, first 2 shown]
	v_add_f32_e32 v136, v136, v189
	v_add_f32_e32 v120, v120, v187
	;; [unrolled: 1-line block ×6, first 2 shown]
	v_sub_f32_e32 v50, v182, v50
	v_add_f32_e32 v14, v15, v14
	v_fma_f32 v15, v73, s11, -v240
	v_fma_f32 v16, v46, s17, -v82
	v_mul_f32_e32 v196, 0x3dbcf732, v47
	v_mul_f32_e32 v197, 0x3dbcf732, v48
	;; [unrolled: 1-line block ×7, first 2 shown]
	v_sub_f32_e32 v148, v190, v148
	v_add_f32_e32 v136, v136, v13
	v_sub_f32_e32 v130, v188, v130
	v_add_f32_e32 v120, v120, v13
	v_add_f32_e32 v93, v93, v13
	v_sub_f32_e32 v90, v184, v90
	v_add_f32_e32 v59, v59, v55
	;; [unrolled: 3-line block ×3, first 2 shown]
	v_fma_f32 v15, v78, s14, -v241
	v_fmac_f32_e32 v242, 0xbf7ba420, v45
	v_add_f32_e32 v13, v16, v13
	v_fma_f32 v16, v48, s10, -v86
	v_fmac_f32_e32 v80, 0xbf59a7d5, v45
	v_mul_f32_e32 v208, 0xbf1a4643, v49
	v_mul_f32_e32 v209, 0xbf1a4643, v51
	;; [unrolled: 1-line block ×7, first 2 shown]
	v_add_f32_e32 v164, v165, v164
	v_mul_f32_e32 v165, 0xbf7ba420, v72
	v_add_f32_e32 v148, v148, v12
	v_sub_f32_e32 v149, v202, v149
	v_add_f32_e32 v137, v137, v201
	v_add_f32_e32 v130, v130, v12
	v_sub_f32_e32 v131, v200, v131
	v_add_f32_e32 v121, v121, v199
	v_add_f32_e32 v96, v97, v197
	;; [unrolled: 1-line block ×3, first 2 shown]
	v_sub_f32_e32 v91, v196, v91
	v_add_f32_e32 v50, v55, v50
	v_sub_f32_e32 v55, v206, v62
	v_add_f32_e32 v15, v15, v14
	v_add_f32_e32 v14, v242, v12
	v_fmac_f32_e32 v243, 0x3f6eb680, v47
	v_add_f32_e32 v13, v16, v13
	v_fma_f32 v16, v51, s14, -v251
	v_add_f32_e32 v12, v80, v12
	v_fmac_f32_e32 v84, 0x3ee437d1, v47
	v_mul_f32_e32 v220, 0xbf7ba420, v56
	v_mul_f32_e32 v221, 0xbf7ba420, v57
	;; [unrolled: 1-line block ×7, first 2 shown]
	v_sub_f32_e32 v165, v165, v170
	v_add_f32_e32 v148, v149, v148
	v_sub_f32_e32 v149, v214, v150
	v_add_f32_e32 v136, v137, v136
	v_add_f32_e32 v137, v139, v213
	;; [unrolled: 1-line block ×3, first 2 shown]
	v_sub_f32_e32 v131, v212, v133
	v_add_f32_e32 v120, v121, v120
	v_add_f32_e32 v121, v122, v211
	;; [unrolled: 1-line block ×5, first 2 shown]
	v_sub_f32_e32 v91, v208, v92
	v_add_f32_e32 v50, v55, v50
	v_sub_f32_e32 v55, v218, v66
	v_add_f32_e32 v14, v243, v14
	v_fmac_f32_e32 v244, 0xbf59a7d5, v49
	v_add_f32_e32 v13, v16, v13
	v_fma_f32 v16, v57, s15, -v103
	v_add_f32_e32 v12, v84, v12
	v_fmac_f32_e32 v252, 0x3dbcf732, v49
	v_mul_f32_e32 v232, 0xbf59a7d5, v60
	v_mul_f32_e32 v233, 0xbf59a7d5, v61
	;; [unrolled: 1-line block ×8, first 2 shown]
	v_add_f32_e32 v164, v165, v164
	v_mul_f32_e32 v165, 0x3ee437d1, v75
	v_add_f32_e32 v148, v149, v148
	v_sub_f32_e32 v149, v226, v151
	v_add_f32_e32 v136, v137, v136
	v_add_f32_e32 v137, v141, v225
	;; [unrolled: 1-line block ×3, first 2 shown]
	v_sub_f32_e32 v131, v224, v134
	v_add_f32_e32 v120, v121, v120
	v_add_f32_e32 v121, v124, v223
	;; [unrolled: 1-line block ×5, first 2 shown]
	v_sub_f32_e32 v91, v220, v94
	v_add_f32_e32 v50, v55, v50
	v_sub_f32_e32 v55, v230, v74
	v_add_f32_e32 v14, v244, v14
	v_fmac_f32_e32 v245, 0x3f3d2fb0, v56
	v_add_f32_e32 v13, v16, v13
	v_fma_f32 v16, v61, s4, -v109
	v_add_f32_e32 v12, v252, v12
	v_fmac_f32_e32 v250, 0xbf1a4643, v56
	v_mul_f32_e32 v177, 0xbe8c1d8e, v64
	v_mul_f32_e32 v178, 0xbe8c1d8e, v65
	;; [unrolled: 1-line block ×8, first 2 shown]
	v_sub_f32_e32 v170, v165, v171
	v_add_f32_e32 v159, v159, v205
	v_add_f32_e32 v148, v149, v148
	v_sub_f32_e32 v149, v173, v152
	v_add_f32_e32 v136, v137, v136
	v_add_f32_e32 v137, v144, v193
	;; [unrolled: 1-line block ×3, first 2 shown]
	v_sub_f32_e32 v131, v172, v135
	v_add_f32_e32 v120, v121, v120
	v_add_f32_e32 v115, v125, v115
	;; [unrolled: 1-line block ×5, first 2 shown]
	v_sub_f32_e32 v91, v232, v95
	v_add_f32_e32 v50, v55, v50
	v_sub_f32_e32 v55, v175, v77
	v_add_f32_e32 v14, v245, v14
	v_fmac_f32_e32 v246, 0xbf1a4643, v60
	v_add_f32_e32 v13, v16, v13
	v_fma_f32 v16, v65, s16, -v119
	v_add_f32_e32 v12, v250, v12
	v_fmac_f32_e32 v107, 0x3f6eb680, v60
	v_mul_f32_e32 v174, 0x3ee437d1, v72
	v_mul_f32_e32 v167, 0x3ee437d1, v73
	;; [unrolled: 1-line block ×3, first 2 shown]
	v_add_f32_e32 v165, v176, v132
	v_add_f32_e32 v164, v170, v164
	v_mul_f32_e32 v170, 0xbf1a4643, v72
	v_mul_f32_e32 v132, 0xbf1a4643, v73
	;; [unrolled: 1-line block ×5, first 2 shown]
	v_add_f32_e32 v159, v159, v160
	v_add_f32_e32 v158, v158, v216
	;; [unrolled: 1-line block ×3, first 2 shown]
	v_sub_f32_e32 v149, v166, v153
	v_add_f32_e32 v136, v137, v136
	v_add_f32_e32 v137, v145, v229
	;; [unrolled: 1-line block ×3, first 2 shown]
	v_sub_f32_e32 v131, v204, v138
	v_add_f32_e32 v115, v115, v120
	v_add_f32_e32 v120, v126, v192
	;; [unrolled: 1-line block ×5, first 2 shown]
	v_sub_f32_e32 v91, v177, v98
	v_add_f32_e32 v50, v55, v50
	v_sub_f32_e32 v55, v228, v81
	v_add_f32_e32 v14, v246, v14
	v_fmac_f32_e32 v247, 0x3ee437d1, v64
	v_add_f32_e32 v13, v16, v13
	v_fma_f32 v16, v73, s5, -v129
	v_add_f32_e32 v12, v107, v12
	v_fmac_f32_e32 v253, 0xbf7ba420, v64
	v_mul_f32_e32 v162, 0x3f6eb680, v75
	v_mul_f32_e32 v215, 0x3f6eb680, v78
	;; [unrolled: 1-line block ×5, first 2 shown]
	v_add_f32_e32 v158, v158, v159
	v_mul_f32_e32 v159, 0xbf1a4643, v75
	v_add_f32_e32 v156, v156, v191
	v_mul_f32_e32 v191, 0xbf1a4643, v78
	v_add_f32_e32 v148, v149, v148
	v_sub_f32_e32 v149, v176, v154
	v_add_f32_e32 v136, v137, v136
	v_add_f32_e32 v132, v146, v132
	;; [unrolled: 1-line block ×3, first 2 shown]
	v_sub_f32_e32 v131, v170, v140
	v_add_f32_e32 v115, v120, v115
	v_add_f32_e32 v120, v127, v171
	;; [unrolled: 1-line block ×5, first 2 shown]
	v_sub_f32_e32 v91, v174, v100
	v_add_f32_e32 v50, v55, v50
	v_sub_f32_e32 v55, v163, v85
	v_add_f32_e32 v14, v247, v14
	v_fmac_f32_e32 v248, 0xbe8c1d8e, v72
	v_add_f32_e32 v13, v16, v13
	v_fma_f32 v16, v78, s11, -v143
	v_add_f32_e32 v12, v253, v12
	v_fmac_f32_e32 v123, 0x3f3d2fb0, v72
	v_add_f32_e32 v156, v156, v158
	v_add_f32_e32 v157, v157, v191
	;; [unrolled: 1-line block ×3, first 2 shown]
	v_sub_f32_e32 v149, v159, v155
	v_add_f32_e32 v132, v132, v136
	v_add_f32_e32 v136, v147, v216
	;; [unrolled: 1-line block ×3, first 2 shown]
	v_sub_f32_e32 v131, v160, v142
	v_add_f32_e32 v115, v120, v115
	v_add_f32_e32 v120, v128, v205
	;; [unrolled: 1-line block ×5, first 2 shown]
	v_sub_f32_e32 v91, v162, v102
	v_add_f32_e32 v58, v55, v50
	v_add_f32_e32 v14, v248, v14
	v_fmac_f32_e32 v249, 0x3dbcf732, v75
	v_add_f32_e32 v13, v16, v13
	v_add_f32_e32 v12, v123, v12
	v_fmac_f32_e32 v254, 0xbe8c1d8e, v75
	v_add_lshl_u32 v16, v44, v70, 3
	v_add_f32_e32 v156, v157, v156
	v_add_f32_e32 v155, v149, v148
	;; [unrolled: 1-line block ×9, first 2 shown]
	ds_write2_b64 v16, v[8:9], v[58:59] offset1:1
	ds_write2_b64 v16, v[92:93], v[114:115] offset0:2 offset1:3
	ds_write2_b64 v16, v[131:132], v[155:156] offset0:4 offset1:5
	;; [unrolled: 1-line block ×7, first 2 shown]
	ds_write_b64 v16, v[53:54] offset:128
.LBB0_7:
	s_or_b64 exec, exec, s[2:3]
	v_mul_u32_u24_e32 v8, 10, v67
	v_lshlrev_b32_e32 v8, 3, v8
	s_load_dwordx4 s[0:3], s[0:1], 0x0
	s_waitcnt lgkmcnt(0)
	s_barrier
	global_load_dwordx4 v[24:27], v8, s[8:9]
	global_load_dwordx4 v[20:23], v8, s[8:9] offset:16
	global_load_dwordx4 v[16:19], v8, s[8:9] offset:32
	;; [unrolled: 1-line block ×4, first 2 shown]
	v_add_lshl_u32 v72, v44, v67, 3
	ds_read2_b64 v[34:37], v72 offset1:17
	ds_read2_b64 v[38:41], v72 offset0:34 offset1:51
	ds_read2_b64 v[42:45], v72 offset0:68 offset1:85
	;; [unrolled: 1-line block ×4, first 2 shown]
	ds_read_b64 v[8:9], v72 offset:1360
	s_mov_b32 s4, 0x3f575c64
	s_mov_b32 s5, 0x3ed4b147
	;; [unrolled: 1-line block ×5, first 2 shown]
	s_waitcnt vmcnt(4) lgkmcnt(5)
	v_mul_f32_e32 v32, v37, v25
	v_mul_f32_e32 v33, v36, v25
	s_waitcnt lgkmcnt(4)
	v_mul_f32_e32 v50, v39, v27
	v_mul_f32_e32 v51, v38, v27
	s_waitcnt vmcnt(2) lgkmcnt(3)
	v_mul_f32_e32 v63, v45, v17
	s_waitcnt vmcnt(0) lgkmcnt(0)
	v_mul_f32_e32 v78, v9, v31
	v_mul_f32_e32 v79, v8, v31
	v_fma_f32 v32, v36, v24, -v32
	v_fmac_f32_e32 v33, v37, v24
	v_mul_f32_e32 v59, v41, v21
	v_mul_f32_e32 v60, v40, v21
	;; [unrolled: 1-line block ×4, first 2 shown]
	v_fma_f32 v36, v38, v26, -v50
	v_fmac_f32_e32 v51, v39, v26
	v_fma_f32 v39, v44, v16, -v63
	v_fma_f32 v8, v8, v30, -v78
	v_fmac_f32_e32 v79, v9, v30
	v_add_f32_e32 v9, v34, v32
	v_add_f32_e32 v44, v35, v33
	v_mul_f32_e32 v61, v43, v23
	v_mul_f32_e32 v62, v42, v23
	;; [unrolled: 1-line block ×3, first 2 shown]
	v_fma_f32 v37, v40, v20, -v59
	v_fmac_f32_e32 v60, v41, v20
	v_fmac_f32_e32 v64, v45, v16
	v_fmac_f32_e32 v66, v47, v18
	v_add_f32_e32 v45, v32, v8
	v_sub_f32_e32 v47, v32, v8
	v_add_f32_e32 v9, v9, v36
	v_add_f32_e32 v32, v44, v51
	v_fma_f32 v38, v42, v22, -v61
	v_fmac_f32_e32 v62, v43, v22
	v_add_f32_e32 v9, v9, v37
	v_add_f32_e32 v32, v32, v60
	v_add_f32_e32 v9, v9, v38
	v_add_f32_e32 v32, v32, v62
	v_mul_f32_e32 v71, v49, v13
	v_mul_f32_e32 v73, v48, v13
	v_fma_f32 v40, v46, v18, -v65
	v_add_f32_e32 v9, v9, v39
	v_add_f32_e32 v32, v32, v64
	v_mul_f32_e32 v74, v56, v15
	v_mul_f32_e32 v75, v55, v15
	v_fma_f32 v41, v48, v12, -v71
	v_fmac_f32_e32 v73, v49, v12
	v_sub_f32_e32 v48, v33, v79
	v_add_f32_e32 v9, v9, v40
	v_add_f32_e32 v32, v32, v66
	v_mul_f32_e32 v76, v58, v29
	v_mul_f32_e32 v77, v57, v29
	v_fma_f32 v42, v55, v14, -v74
	v_fmac_f32_e32 v75, v56, v14
	v_add_f32_e32 v46, v33, v79
	v_mul_f32_e32 v33, 0xbf0a6770, v48
	v_add_f32_e32 v9, v9, v41
	v_add_f32_e32 v32, v32, v73
	v_fma_f32 v43, v57, v28, -v76
	v_fmac_f32_e32 v77, v58, v28
	v_fma_f32 v49, v45, s4, -v33
	v_fmac_f32_e32 v33, 0x3f575c64, v45
	v_add_f32_e32 v9, v9, v42
	v_add_f32_e32 v32, v32, v75
	v_mul_f32_e32 v44, 0xbf0a6770, v47
	v_add_f32_e32 v55, v34, v33
	v_add_f32_e32 v9, v9, v43
	;; [unrolled: 1-line block ×3, first 2 shown]
	v_mul_f32_e32 v56, 0xbf68dda4, v47
	v_mul_f32_e32 v61, 0xbf7d64f0, v47
	;; [unrolled: 1-line block ×4, first 2 shown]
	v_mov_b32_e32 v50, v44
	v_add_f32_e32 v32, v9, v8
	v_add_f32_e32 v33, v33, v79
	v_mul_f32_e32 v8, 0xbf68dda4, v48
	v_mov_b32_e32 v57, v56
	v_mul_f32_e32 v58, 0xbf7d64f0, v48
	v_mov_b32_e32 v63, v61
	v_mul_f32_e32 v65, 0xbf4178ce, v48
	v_mov_b32_e32 v76, v74
	v_mul_f32_e32 v48, 0xbe903f40, v48
	v_mov_b32_e32 v79, v47
	v_fma_f32 v44, v46, s4, -v44
	v_fmac_f32_e32 v50, 0x3f575c64, v46
	v_fma_f32 v9, v45, s5, -v8
	v_fmac_f32_e32 v57, 0x3ed4b147, v46
	v_fmac_f32_e32 v8, 0x3ed4b147, v45
	v_fma_f32 v56, v46, s5, -v56
	v_fma_f32 v59, v45, s8, -v58
	v_fmac_f32_e32 v63, 0xbe11bafb, v46
	v_fmac_f32_e32 v58, 0xbe11bafb, v45
	v_fma_f32 v61, v46, s8, -v61
	;; [unrolled: 4-line block ×4, first 2 shown]
	v_add_f32_e32 v44, v35, v44
	v_add_f32_e32 v50, v35, v50
	;; [unrolled: 1-line block ×11, first 2 shown]
	v_sub_f32_e32 v36, v36, v43
	v_sub_f32_e32 v43, v51, v77
	v_mul_f32_e32 v47, 0xbf68dda4, v43
	v_add_f32_e32 v49, v34, v49
	v_add_f32_e32 v9, v34, v9
	;; [unrolled: 1-line block ×9, first 2 shown]
	v_fma_f32 v48, v45, s5, -v47
	v_add_f32_e32 v46, v51, v77
	v_add_f32_e32 v48, v48, v49
	v_mul_f32_e32 v49, 0xbf68dda4, v36
	v_mov_b32_e32 v51, v49
	v_fma_f32 v49, v46, s5, -v49
	v_fmac_f32_e32 v51, 0x3ed4b147, v46
	v_add_f32_e32 v44, v49, v44
	v_mul_f32_e32 v49, 0xbf4178ce, v43
	v_add_f32_e32 v50, v51, v50
	v_fma_f32 v51, v45, s9, -v49
	v_fmac_f32_e32 v47, 0x3ed4b147, v45
	v_add_f32_e32 v9, v51, v9
	v_mul_f32_e32 v51, 0xbf4178ce, v36
	v_add_f32_e32 v47, v47, v55
	v_mov_b32_e32 v55, v51
	v_fmac_f32_e32 v49, 0xbf27a4f4, v45
	v_fmac_f32_e32 v55, 0xbf27a4f4, v46
	v_add_f32_e32 v8, v49, v8
	v_fma_f32 v49, v46, s9, -v51
	v_mul_f32_e32 v51, 0x3e903f40, v43
	v_add_f32_e32 v55, v55, v57
	v_add_f32_e32 v49, v49, v56
	v_fma_f32 v56, v45, s10, -v51
	v_mul_f32_e32 v57, 0x3e903f40, v36
	v_add_f32_e32 v56, v56, v59
	v_mov_b32_e32 v59, v57
	v_fmac_f32_e32 v51, 0xbf75a155, v45
	v_fmac_f32_e32 v59, 0xbf75a155, v46
	v_add_f32_e32 v51, v51, v58
	v_fma_f32 v57, v46, s10, -v57
	v_mul_f32_e32 v58, 0x3f7d64f0, v43
	v_add_f32_e32 v59, v59, v63
	v_add_f32_e32 v57, v57, v61
	v_fma_f32 v61, v45, s8, -v58
	v_mul_f32_e32 v63, 0x3f7d64f0, v36
	v_add_f32_e32 v61, v61, v71
	v_mov_b32_e32 v71, v63
	v_fma_f32 v63, v46, s8, -v63
	v_mul_f32_e32 v36, 0x3f0a6770, v36
	v_add_f32_e32 v63, v63, v74
	v_mov_b32_e32 v74, v36
	v_fma_f32 v36, v46, s4, -v36
	v_fmac_f32_e32 v58, 0xbe11bafb, v45
	v_mul_f32_e32 v43, 0x3f0a6770, v43
	v_add_f32_e32 v35, v36, v35
	v_add_f32_e32 v36, v37, v42
	v_sub_f32_e32 v37, v37, v42
	v_sub_f32_e32 v42, v60, v75
	v_add_f32_e32 v58, v58, v65
	v_fma_f32 v65, v45, s4, -v43
	v_fmac_f32_e32 v43, 0x3f575c64, v45
	v_mul_f32_e32 v45, 0xbf7d64f0, v42
	v_fmac_f32_e32 v71, 0xbe11bafb, v46
	v_fmac_f32_e32 v74, 0x3f575c64, v46
	v_fma_f32 v46, v36, s8, -v45
	v_add_f32_e32 v34, v43, v34
	v_add_f32_e32 v43, v60, v75
	;; [unrolled: 1-line block ×3, first 2 shown]
	v_mul_f32_e32 v48, 0xbf7d64f0, v37
	v_fmac_f32_e32 v45, 0xbe11bafb, v36
	v_add_f32_e32 v45, v45, v47
	v_fma_f32 v47, v43, s8, -v48
	v_add_f32_e32 v44, v47, v44
	v_mul_f32_e32 v47, 0x3e903f40, v42
	v_mov_b32_e32 v60, v48
	v_fma_f32 v48, v36, s10, -v47
	v_fmac_f32_e32 v60, 0xbe11bafb, v43
	v_add_f32_e32 v9, v48, v9
	v_mul_f32_e32 v48, 0x3e903f40, v37
	v_fmac_f32_e32 v47, 0xbf75a155, v36
	v_add_f32_e32 v50, v60, v50
	v_mov_b32_e32 v60, v48
	v_add_f32_e32 v8, v47, v8
	v_fma_f32 v47, v43, s10, -v48
	v_mul_f32_e32 v48, 0x3f68dda4, v42
	v_add_f32_e32 v47, v47, v49
	v_fma_f32 v49, v36, s5, -v48
	v_fmac_f32_e32 v60, 0xbf75a155, v43
	v_add_f32_e32 v49, v49, v56
	v_mul_f32_e32 v56, 0x3f68dda4, v37
	v_add_f32_e32 v55, v60, v55
	v_mov_b32_e32 v60, v56
	v_fmac_f32_e32 v48, 0x3ed4b147, v36
	v_fmac_f32_e32 v60, 0x3ed4b147, v43
	v_add_f32_e32 v48, v48, v51
	v_fma_f32 v51, v43, s5, -v56
	v_mul_f32_e32 v56, 0xbf0a6770, v42
	v_add_f32_e32 v59, v60, v59
	v_add_f32_e32 v51, v51, v57
	v_fma_f32 v57, v36, s4, -v56
	v_mul_f32_e32 v60, 0xbf0a6770, v37
	v_fmac_f32_e32 v56, 0x3f575c64, v36
	v_mul_f32_e32 v42, 0xbf4178ce, v42
	v_mul_f32_e32 v37, 0xbf4178ce, v37
	v_add_f32_e32 v57, v57, v61
	v_mov_b32_e32 v61, v60
	v_add_f32_e32 v56, v56, v58
	v_fma_f32 v58, v43, s4, -v60
	v_fma_f32 v60, v36, s9, -v42
	v_fmac_f32_e32 v42, 0xbf27a4f4, v36
	v_fma_f32 v36, v43, s9, -v37
	v_add_f32_e32 v35, v36, v35
	v_add_f32_e32 v36, v38, v41
	v_sub_f32_e32 v38, v38, v41
	v_sub_f32_e32 v41, v62, v73
	v_add_f32_e32 v58, v58, v63
	v_mov_b32_e32 v63, v37
	v_add_f32_e32 v34, v42, v34
	v_mul_f32_e32 v42, 0xbf4178ce, v41
	v_fmac_f32_e32 v61, 0x3f575c64, v43
	v_fmac_f32_e32 v63, 0xbf27a4f4, v43
	v_fma_f32 v43, v36, s9, -v42
	v_add_f32_e32 v37, v62, v73
	v_add_f32_e32 v43, v43, v46
	v_mul_f32_e32 v46, 0xbf4178ce, v38
	v_fmac_f32_e32 v42, 0xbf27a4f4, v36
	v_add_f32_e32 v42, v42, v45
	v_fma_f32 v45, v37, s9, -v46
	v_add_f32_e32 v44, v45, v44
	v_mul_f32_e32 v45, 0x3f7d64f0, v41
	v_mov_b32_e32 v62, v46
	v_fma_f32 v46, v36, s8, -v45
	v_add_f32_e32 v46, v46, v9
	v_mul_f32_e32 v9, 0x3f7d64f0, v38
	v_fmac_f32_e32 v45, 0xbe11bafb, v36
	v_add_f32_e32 v45, v45, v8
	v_fma_f32 v8, v37, s8, -v9
	v_fmac_f32_e32 v62, 0xbf27a4f4, v37
	v_add_f32_e32 v47, v8, v47
	v_mul_f32_e32 v8, 0xbf0a6770, v41
	v_add_f32_e32 v50, v62, v50
	v_mov_b32_e32 v62, v9
	v_fma_f32 v9, v36, s4, -v8
	v_add_f32_e32 v49, v9, v49
	v_mul_f32_e32 v9, 0xbf0a6770, v38
	v_fmac_f32_e32 v8, 0x3f575c64, v36
	v_add_f32_e32 v48, v8, v48
	v_fma_f32 v8, v37, s4, -v9
	v_fmac_f32_e32 v62, 0xbe11bafb, v37
	v_add_f32_e32 v51, v8, v51
	v_mul_f32_e32 v8, 0xbe903f40, v41
	v_add_f32_e32 v55, v62, v55
	v_mov_b32_e32 v62, v9
	v_fma_f32 v9, v36, s10, -v8
	v_add_f32_e32 v57, v9, v57
	v_mul_f32_e32 v9, 0xbe903f40, v38
	v_fmac_f32_e32 v8, 0xbf75a155, v36
	v_add_f32_e32 v56, v8, v56
	v_fma_f32 v8, v37, s10, -v9
	v_add_f32_e32 v65, v65, v78
	v_fmac_f32_e32 v62, 0x3f575c64, v37
	v_add_f32_e32 v58, v8, v58
	v_mul_f32_e32 v8, 0x3f68dda4, v41
	v_add_f32_e32 v60, v60, v65
	v_add_f32_e32 v59, v62, v59
	v_mov_b32_e32 v62, v9
	v_fma_f32 v9, v36, s5, -v8
	v_add_f32_e32 v60, v9, v60
	v_mul_f32_e32 v9, 0x3f68dda4, v38
	v_add_f32_e32 v71, v71, v76
	v_add_f32_e32 v74, v74, v79
	v_mov_b32_e32 v38, v9
	v_add_f32_e32 v61, v61, v71
	v_add_f32_e32 v63, v63, v74
	v_fmac_f32_e32 v62, 0xbf75a155, v37
	v_fmac_f32_e32 v38, 0x3ed4b147, v37
	;; [unrolled: 1-line block ×3, first 2 shown]
	v_add_f32_e32 v61, v62, v61
	v_add_f32_e32 v62, v38, v63
	;; [unrolled: 1-line block ×3, first 2 shown]
	v_fma_f32 v8, v37, s5, -v9
	v_add_f32_e32 v73, v64, v66
	v_sub_f32_e32 v64, v64, v66
	v_add_f32_e32 v65, v8, v35
	v_add_f32_e32 v71, v39, v40
	v_sub_f32_e32 v74, v39, v40
	v_mul_f32_e32 v8, 0xbe903f40, v64
	v_mul_f32_e32 v38, 0x3f0a6770, v64
	v_fma_f32 v9, v71, s10, -v8
	v_fmac_f32_e32 v8, 0xbf75a155, v71
	v_fma_f32 v36, v71, s4, -v38
	v_mul_f32_e32 v39, 0x3f0a6770, v74
	v_fmac_f32_e32 v38, 0x3f575c64, v71
	v_add_f32_e32 v34, v9, v43
	v_mul_f32_e32 v9, 0xbe903f40, v74
	v_add_f32_e32 v8, v8, v42
	v_add_f32_e32 v42, v38, v45
	v_fma_f32 v38, v73, s4, -v39
	v_mul_f32_e32 v40, 0xbf4178ce, v64
	v_mov_b32_e32 v35, v9
	v_fma_f32 v9, v73, s10, -v9
	v_add_f32_e32 v36, v36, v46
	v_add_f32_e32 v43, v38, v47
	v_fma_f32 v38, v71, s9, -v40
	v_mul_f32_e32 v46, 0x3f68dda4, v64
	v_fmac_f32_e32 v35, 0xbf75a155, v73
	v_add_f32_e32 v9, v9, v44
	v_add_f32_e32 v38, v38, v49
	v_mul_f32_e32 v41, 0xbf4178ce, v74
	v_fmac_f32_e32 v40, 0xbf27a4f4, v71
	v_fma_f32 v44, v71, s5, -v46
	v_mul_f32_e32 v47, 0x3f68dda4, v74
	v_fmac_f32_e32 v46, 0x3ed4b147, v71
	v_mul_f32_e32 v49, 0xbf7d64f0, v74
	v_add_f32_e32 v35, v35, v50
	v_mov_b32_e32 v37, v39
	v_mov_b32_e32 v39, v41
	v_add_f32_e32 v40, v40, v48
	v_fma_f32 v41, v73, s9, -v41
	v_mov_b32_e32 v45, v47
	v_add_f32_e32 v50, v46, v56
	v_fma_f32 v46, v73, s5, -v47
	v_mul_f32_e32 v48, 0xbf7d64f0, v64
	v_mov_b32_e32 v47, v49
	v_fmac_f32_e32 v37, 0x3f575c64, v73
	v_fmac_f32_e32 v39, 0xbf27a4f4, v73
	v_add_f32_e32 v41, v41, v51
	v_fmac_f32_e32 v45, 0x3ed4b147, v73
	v_add_f32_e32 v51, v46, v58
	v_fma_f32 v46, v71, s8, -v48
	v_fmac_f32_e32 v47, 0xbe11bafb, v73
	v_fmac_f32_e32 v48, 0xbe11bafb, v71
	v_fma_f32 v49, v73, s8, -v49
	v_add_f32_e32 v37, v37, v55
	v_add_f32_e32 v39, v39, v59
	;; [unrolled: 1-line block ×8, first 2 shown]
	v_lshl_add_u32 v71, v67, 3, v69
	ds_write2_b64 v71, v[32:33], v[34:35] offset1:17
	ds_write2_b64 v71, v[36:37], v[38:39] offset0:34 offset1:51
	ds_write2_b64 v71, v[44:45], v[46:47] offset0:68 offset1:85
	;; [unrolled: 1-line block ×4, first 2 shown]
	ds_write_b64 v71, v[8:9] offset:1360
	s_waitcnt lgkmcnt(0)
	s_barrier
	s_and_saveexec_b64 s[4:5], vcc
	s_cbranch_execz .LBB0_9
; %bb.8:
	global_load_dwordx2 v[89:90], v68, s[6:7] offset:1496
	s_add_u32 s8, s6, 0x5d8
	s_addc_u32 s9, s7, 0
	global_load_dwordx2 v[91:92], v68, s[8:9] offset:88
	global_load_dwordx2 v[93:94], v68, s[8:9] offset:176
	;; [unrolled: 1-line block ×15, first 2 shown]
	ds_read2_b64 v[55:58], v71 offset1:11
	ds_read2_b64 v[59:62], v71 offset0:22 offset1:33
	global_load_dwordx2 v[121:122], v68, s[8:9] offset:1408
	ds_read2_b64 v[63:66], v71 offset0:44 offset1:55
	ds_read2_b64 v[73:76], v71 offset0:66 offset1:77
	;; [unrolled: 1-line block ×5, first 2 shown]
	s_waitcnt vmcnt(13) lgkmcnt(5)
	v_mul_f32_e32 v125, v62, v96
	s_waitcnt vmcnt(12) lgkmcnt(4)
	v_mul_f32_e32 v126, v64, v98
	s_waitcnt vmcnt(11)
	v_mul_f32_e32 v127, v66, v100
	s_waitcnt vmcnt(10) lgkmcnt(3)
	v_mul_f32_e32 v128, v74, v102
	s_waitcnt vmcnt(9)
	;; [unrolled: 4-line block ×4, first 2 shown]
	v_mul_f32_e32 v133, v84, v112
	v_mul_f32_e32 v123, v56, v90
	;; [unrolled: 1-line block ×3, first 2 shown]
	v_fma_f32 v123, v55, v89, -v123
	v_fmac_f32_e32 v124, v56, v89
	v_mul_f32_e32 v55, v58, v92
	v_mul_f32_e32 v56, v57, v92
	;; [unrolled: 1-line block ×13, first 2 shown]
	v_fma_f32 v55, v57, v91, -v55
	v_fmac_f32_e32 v56, v58, v91
	v_fma_f32 v89, v59, v93, -v89
	v_fmac_f32_e32 v90, v60, v93
	;; [unrolled: 2-line block ×11, first 2 shown]
	ds_write2_b64 v71, v[123:124], v[55:56] offset1:11
	ds_write2_b64 v71, v[89:90], v[91:92] offset0:22 offset1:33
	ds_write2_b64 v71, v[93:94], v[95:96] offset0:44 offset1:55
	;; [unrolled: 1-line block ×5, first 2 shown]
	ds_read2_b64 v[55:58], v71 offset0:154 offset1:165
	s_waitcnt vmcnt(4) lgkmcnt(7)
	v_mul_f32_e32 v112, v86, v114
	v_mul_f32_e32 v110, v85, v114
	s_waitcnt vmcnt(3)
	v_mul_f32_e32 v114, v88, v116
	v_mul_f32_e32 v60, v87, v116
	v_fma_f32 v109, v85, v113, -v112
	v_fmac_f32_e32 v110, v86, v113
	v_fma_f32 v59, v87, v115, -v114
	v_fmac_f32_e32 v60, v88, v115
	ds_write2_b64 v71, v[109:110], v[59:60] offset0:132 offset1:143
	s_waitcnt vmcnt(2) lgkmcnt(1)
	v_mul_f32_e32 v59, v56, v118
	v_mul_f32_e32 v60, v55, v118
	v_fma_f32 v59, v55, v117, -v59
	v_fmac_f32_e32 v60, v56, v117
	ds_read_b64 v[55:56], v71 offset:1408
	s_waitcnt vmcnt(1)
	v_mul_f32_e32 v61, v58, v120
	v_mul_f32_e32 v62, v57, v120
	v_fma_f32 v61, v57, v119, -v61
	v_fmac_f32_e32 v62, v58, v119
	s_waitcnt vmcnt(0) lgkmcnt(0)
	v_mul_f32_e32 v57, v56, v122
	v_mul_f32_e32 v58, v55, v122
	v_fma_f32 v57, v55, v121, -v57
	v_fmac_f32_e32 v58, v56, v121
	ds_write2_b64 v71, v[59:60], v[61:62] offset0:154 offset1:165
	ds_write_b64 v71, v[57:58] offset:1408
.LBB0_9:
	s_or_b64 exec, exec, s[4:5]
	s_waitcnt lgkmcnt(0)
	s_barrier
	s_and_saveexec_b64 s[4:5], vcc
	s_cbranch_execz .LBB0_11
; %bb.10:
	ds_read2_b64 v[32:35], v71 offset1:11
	ds_read2_b64 v[36:39], v71 offset0:22 offset1:33
	ds_read2_b64 v[44:47], v71 offset0:44 offset1:55
	;; [unrolled: 1-line block ×7, first 2 shown]
	ds_read_b64 v[53:54], v71 offset:1408
.LBB0_11:
	s_or_b64 exec, exec, s[4:5]
	s_waitcnt lgkmcnt(0)
	s_barrier
	s_and_saveexec_b64 s[4:5], vcc
	s_cbranch_execz .LBB0_13
; %bb.12:
	v_add_f32_e32 v115, v54, v35
	v_mul_f32_e32 v89, 0xbf7ba420, v115
	v_add_f32_e32 v116, v3, v37
	v_sub_f32_e32 v73, v34, v53
	v_mov_b32_e32 v55, v89
	v_mul_f32_e32 v90, 0x3f6eb680, v116
	v_fmac_f32_e32 v55, 0x3e3c28d5, v73
	v_sub_f32_e32 v74, v36, v2
	v_mov_b32_e32 v56, v90
	v_add_f32_e32 v117, v1, v39
	v_add_f32_e32 v55, v33, v55
	v_fmac_f32_e32 v56, 0xbeb8f4ab, v74
	v_mul_f32_e32 v91, 0xbf59a7d5, v117
	v_add_f32_e32 v55, v56, v55
	v_sub_f32_e32 v75, v38, v0
	v_mov_b32_e32 v56, v91
	v_add_f32_e32 v118, v7, v45
	v_fmac_f32_e32 v56, 0x3f06c442, v75
	v_mul_f32_e32 v92, 0x3f3d2fb0, v118
	v_add_f32_e32 v55, v56, v55
	v_sub_f32_e32 v76, v44, v6
	v_mov_b32_e32 v56, v92
	;; [unrolled: 6-line block ×6, first 2 shown]
	v_sub_f32_e32 v123, v35, v54
	v_fmac_f32_e32 v56, 0xbf7ee86f, v80
	v_mul_f32_e32 v97, 0xbe3c28d5, v123
	v_sub_f32_e32 v124, v37, v3
	v_add_f32_e32 v56, v56, v55
	v_add_f32_e32 v81, v53, v34
	v_mov_b32_e32 v55, v97
	v_mul_f32_e32 v98, 0x3eb8f4ab, v124
	v_fmac_f32_e32 v55, 0xbf7ba420, v81
	v_add_f32_e32 v82, v2, v36
	v_mov_b32_e32 v57, v98
	v_sub_f32_e32 v125, v39, v1
	v_add_f32_e32 v55, v32, v55
	v_fmac_f32_e32 v57, 0x3f6eb680, v82
	v_mul_f32_e32 v99, 0xbf06c442, v125
	v_add_f32_e32 v55, v57, v55
	v_add_f32_e32 v83, v0, v38
	v_mov_b32_e32 v57, v99
	v_sub_f32_e32 v126, v45, v7
	v_fmac_f32_e32 v57, 0xbf59a7d5, v83
	v_mul_f32_e32 v100, 0x3f2c7751, v126
	v_add_f32_e32 v55, v57, v55
	v_add_f32_e32 v84, v6, v44
	v_mov_b32_e32 v57, v100
	v_sub_f32_e32 v127, v47, v5
	;; [unrolled: 6-line block ×5, first 2 shown]
	v_fmac_f32_e32 v57, 0xbe8c1d8e, v87
	v_mul_f32_e32 v104, 0x3f7ee86f, v130
	v_add_f32_e32 v55, v57, v55
	v_add_f32_e32 v88, v42, v40
	v_mov_b32_e32 v57, v104
	v_fmac_f32_e32 v57, 0x3dbcf732, v88
	v_mul_f32_e32 v105, 0xbf59a7d5, v115
	v_add_f32_e32 v55, v57, v55
	v_mov_b32_e32 v57, v105
	v_mul_f32_e32 v106, 0x3ee437d1, v116
	v_fmac_f32_e32 v57, 0x3f06c442, v73
	v_mov_b32_e32 v58, v106
	v_add_f32_e32 v57, v33, v57
	v_fmac_f32_e32 v58, 0xbf65296c, v74
	v_mul_f32_e32 v107, 0x3dbcf732, v117
	v_add_f32_e32 v57, v58, v57
	v_mov_b32_e32 v58, v107
	v_fmac_f32_e32 v58, 0x3f7ee86f, v75
	v_mul_f32_e32 v108, 0xbf1a4643, v118
	v_add_f32_e32 v57, v58, v57
	v_mov_b32_e32 v58, v108
	v_fmac_f32_e32 v58, 0xbf4c4adb, v76
	v_mul_f32_e32 v109, 0x3f6eb680, v119
	v_add_f32_e32 v57, v58, v57
	v_mov_b32_e32 v58, v109
	v_fmac_f32_e32 v58, 0x3eb8f4ab, v77
	v_mul_f32_e32 v110, 0xbf7ba420, v120
	v_add_f32_e32 v57, v58, v57
	v_mov_b32_e32 v58, v110
	v_fmac_f32_e32 v58, 0x3e3c28d5, v78
	v_mul_f32_e32 v111, 0x3f3d2fb0, v121
	v_add_f32_e32 v57, v58, v57
	v_mov_b32_e32 v58, v111
	v_fmac_f32_e32 v58, 0xbf2c7751, v79
	v_mul_f32_e32 v112, 0xbe8c1d8e, v122
	v_add_f32_e32 v57, v58, v57
	v_mov_b32_e32 v58, v112
	v_fmac_f32_e32 v58, 0x3f763a35, v80
	v_mul_f32_e32 v131, 0xbf06c442, v123
	v_add_f32_e32 v58, v58, v57
	v_mov_b32_e32 v57, v131
	v_mul_f32_e32 v132, 0x3f65296c, v124
	v_fmac_f32_e32 v57, 0xbf59a7d5, v81
	v_mov_b32_e32 v59, v132
	v_add_f32_e32 v57, v32, v57
	v_fmac_f32_e32 v59, 0x3ee437d1, v82
	v_mul_f32_e32 v133, 0xbf7ee86f, v125
	v_add_f32_e32 v57, v59, v57
	v_mov_b32_e32 v59, v133
	v_fmac_f32_e32 v59, 0x3dbcf732, v83
	v_mul_f32_e32 v134, 0x3f4c4adb, v126
	v_add_f32_e32 v57, v59, v57
	v_mov_b32_e32 v59, v134
	v_fmac_f32_e32 v59, 0xbf1a4643, v84
	v_mul_f32_e32 v135, 0xbeb8f4ab, v127
	v_add_f32_e32 v57, v59, v57
	v_mov_b32_e32 v59, v135
	v_fmac_f32_e32 v59, 0x3f6eb680, v85
	v_mul_f32_e32 v136, 0xbe3c28d5, v128
	v_add_f32_e32 v57, v59, v57
	v_mov_b32_e32 v59, v136
	v_fmac_f32_e32 v59, 0xbf7ba420, v86
	v_mul_f32_e32 v137, 0x3f2c7751, v129
	v_add_f32_e32 v57, v59, v57
	v_mov_b32_e32 v59, v137
	v_fmac_f32_e32 v59, 0x3f3d2fb0, v87
	v_mul_f32_e32 v138, 0xbf763a35, v130
	;; [unrolled: 32-line block ×5, first 2 shown]
	v_add_f32_e32 v61, v62, v61
	v_mov_b32_e32 v62, v162
	v_fmac_f32_e32 v62, 0x3f4c4adb, v80
	v_mul_f32_e32 v163, 0xbf763a35, v123
	v_add_f32_e32 v62, v62, v61
	v_mov_b32_e32 v61, v163
	v_mul_f32_e32 v164, 0x3f06c442, v124
	v_fmac_f32_e32 v61, 0xbe8c1d8e, v81
	v_mov_b32_e32 v63, v164
	v_add_f32_e32 v35, v35, v33
	v_add_f32_e32 v61, v32, v61
	v_fmac_f32_e32 v63, 0xbf59a7d5, v82
	v_mul_f32_e32 v165, 0x3f2c7751, v125
	v_add_f32_e32 v35, v37, v35
	v_add_f32_e32 v61, v63, v61
	v_mov_b32_e32 v63, v165
	v_add_f32_e32 v35, v39, v35
	v_fmac_f32_e32 v63, 0x3f3d2fb0, v83
	v_mul_f32_e32 v166, 0xbf65296c, v126
	v_add_f32_e32 v35, v45, v35
	v_add_f32_e32 v61, v63, v61
	v_mov_b32_e32 v63, v166
	;; [unrolled: 6-line block ×7, first 2 shown]
	v_mul_f32_e32 v172, 0xbf7ba420, v116
	v_add_f32_e32 v1, v3, v1
	v_add_f32_e32 v3, v34, v32
	v_fmac_f32_e32 v63, 0x3f7ee86f, v73
	v_mov_b32_e32 v64, v172
	v_add_f32_e32 v3, v36, v3
	v_add_f32_e32 v63, v33, v63
	v_fmac_f32_e32 v64, 0x3e3c28d5, v74
	v_mul_f32_e32 v173, 0xbe8c1d8e, v117
	v_add_f32_e32 v3, v38, v3
	v_add_f32_e32 v63, v64, v63
	v_mov_b32_e32 v64, v173
	v_add_f32_e32 v3, v44, v3
	v_fmac_f32_e32 v64, 0xbf763a35, v75
	v_mul_f32_e32 v174, 0x3f6eb680, v118
	v_add_f32_e32 v3, v46, v3
	v_add_f32_e32 v63, v64, v63
	v_mov_b32_e32 v64, v174
	;; [unrolled: 6-line block ×6, first 2 shown]
	v_add_f32_e32 v0, v0, v3
	v_fmac_f32_e32 v89, 0xbe3c28d5, v73
	v_fmac_f32_e32 v64, 0xbf2c7751, v80
	v_mul_f32_e32 v179, 0xbf7ee86f, v123
	v_add_f32_e32 v0, v2, v0
	v_add_f32_e32 v2, v33, v89
	v_fmac_f32_e32 v90, 0x3eb8f4ab, v74
	v_add_f32_e32 v64, v64, v63
	v_mov_b32_e32 v63, v179
	v_mul_f32_e32 v180, 0xbe3c28d5, v124
	v_add_f32_e32 v2, v90, v2
	v_fmac_f32_e32 v91, 0xbf06c442, v75
	v_fmac_f32_e32 v63, 0x3dbcf732, v81
	v_mov_b32_e32 v65, v180
	v_add_f32_e32 v2, v91, v2
	v_fmac_f32_e32 v92, 0x3f2c7751, v76
	v_add_f32_e32 v63, v32, v63
	v_fmac_f32_e32 v65, 0xbf7ba420, v82
	v_mul_f32_e32 v181, 0x3f763a35, v125
	v_add_f32_e32 v2, v92, v2
	v_fmac_f32_e32 v93, 0xbf4c4adb, v77
	v_add_f32_e32 v63, v65, v63
	v_mov_b32_e32 v65, v181
	v_add_f32_e32 v2, v93, v2
	v_fmac_f32_e32 v94, 0x3f65296c, v78
	v_fmac_f32_e32 v65, 0xbe8c1d8e, v83
	v_mul_f32_e32 v182, 0x3eb8f4ab, v126
	v_add_f32_e32 v2, v94, v2
	v_fmac_f32_e32 v95, 0xbf763a35, v79
	s_mov_b32 s8, 0xbf7ba420
	v_add_f32_e32 v63, v65, v63
	v_mov_b32_e32 v65, v182
	v_add_f32_e32 v2, v95, v2
	v_fmac_f32_e32 v96, 0x3f7ee86f, v80
	s_mov_b32 s10, 0x3f6eb680
	v_fmac_f32_e32 v65, 0x3f6eb680, v84
	v_mul_f32_e32 v183, 0xbf65296c, v127
	v_add_f32_e32 v3, v96, v2
	v_fma_f32 v2, v81, s8, -v97
	s_mov_b32 s9, 0xbf59a7d5
	v_add_f32_e32 v63, v65, v63
	v_mov_b32_e32 v65, v183
	v_add_f32_e32 v2, v32, v2
	v_fma_f32 v4, v82, s10, -v98
	s_mov_b32 s14, 0x3f3d2fb0
	v_fmac_f32_e32 v65, 0x3ee437d1, v85
	v_mul_f32_e32 v184, 0xbf06c442, v128
	v_add_f32_e32 v2, v4, v2
	v_fma_f32 v4, v83, s9, -v99
	s_mov_b32 s11, 0xbf1a4643
	v_add_f32_e32 v63, v65, v63
	v_mov_b32_e32 v65, v184
	v_add_f32_e32 v2, v4, v2
	v_fma_f32 v4, v84, s14, -v100
	;; [unrolled: 10-line block ×3, first 2 shown]
	s_mov_b32 s17, 0x3dbcf732
	v_fmac_f32_e32 v65, 0xbf1a4643, v87
	v_mul_f32_e32 v186, 0x3f2c7751, v130
	v_add_f32_e32 v2, v4, v2
	v_fma_f32 v4, v87, s16, -v103
	v_add_f32_e32 v63, v65, v63
	v_mov_b32_e32 v65, v186
	v_add_f32_e32 v2, v4, v2
	v_fma_f32 v4, v88, s17, -v104
	v_fmac_f32_e32 v105, 0xbf06c442, v73
	v_fmac_f32_e32 v65, 0x3f3d2fb0, v88
	v_mul_f32_e32 v187, 0x3ee437d1, v115
	v_add_f32_e32 v2, v4, v2
	v_add_f32_e32 v4, v33, v105
	v_fmac_f32_e32 v106, 0x3f65296c, v74
	v_add_f32_e32 v63, v65, v63
	v_mov_b32_e32 v65, v187
	v_mul_f32_e32 v188, 0xbf1a4643, v116
	v_add_f32_e32 v4, v106, v4
	v_fmac_f32_e32 v107, 0xbf7ee86f, v75
	v_fmac_f32_e32 v65, 0x3f65296c, v73
	v_mov_b32_e32 v66, v188
	v_add_f32_e32 v4, v107, v4
	v_fmac_f32_e32 v108, 0x3f4c4adb, v76
	v_add_f32_e32 v65, v33, v65
	v_fmac_f32_e32 v66, 0x3f4c4adb, v74
	v_mul_f32_e32 v189, 0xbf7ba420, v117
	v_add_f32_e32 v4, v108, v4
	v_fmac_f32_e32 v109, 0xbeb8f4ab, v77
	v_add_f32_e32 v65, v66, v65
	v_mov_b32_e32 v66, v189
	v_add_f32_e32 v4, v109, v4
	v_fmac_f32_e32 v110, 0xbe3c28d5, v78
	v_fmac_f32_e32 v66, 0xbe3c28d5, v75
	v_mul_f32_e32 v190, 0xbe8c1d8e, v118
	v_add_f32_e32 v4, v110, v4
	v_fmac_f32_e32 v111, 0x3f2c7751, v79
	v_add_f32_e32 v65, v66, v65
	v_mov_b32_e32 v66, v190
	v_add_f32_e32 v4, v111, v4
	v_fmac_f32_e32 v112, 0xbf763a35, v80
	v_fmac_f32_e32 v66, 0xbf763a35, v76
	v_mul_f32_e32 v191, 0x3f3d2fb0, v119
	v_add_f32_e32 v5, v112, v4
	v_fma_f32 v4, v81, s9, -v131
	v_add_f32_e32 v65, v66, v65
	v_mov_b32_e32 v66, v191
	v_add_f32_e32 v4, v32, v4
	v_fma_f32 v6, v82, s15, -v132
	v_fmac_f32_e32 v66, 0xbf2c7751, v77
	v_mul_f32_e32 v192, 0x3f6eb680, v120
	v_add_f32_e32 v4, v6, v4
	v_fma_f32 v6, v83, s17, -v133
	v_add_f32_e32 v65, v66, v65
	v_mov_b32_e32 v66, v192
	v_add_f32_e32 v4, v6, v4
	v_fma_f32 v6, v84, s11, -v134
	v_fmac_f32_e32 v66, 0x3eb8f4ab, v78
	v_mul_f32_e32 v193, 0x3dbcf732, v121
	v_add_f32_e32 v4, v6, v4
	v_fma_f32 v6, v85, s10, -v135
	v_add_f32_e32 v65, v66, v65
	v_mov_b32_e32 v66, v193
	v_add_f32_e32 v4, v6, v4
	v_fma_f32 v6, v86, s8, -v136
	v_fmac_f32_e32 v66, 0x3f7ee86f, v79
	v_mul_f32_e32 v194, 0xbf59a7d5, v122
	v_add_f32_e32 v4, v6, v4
	v_fma_f32 v6, v87, s14, -v137
	v_add_f32_e32 v65, v66, v65
	v_mov_b32_e32 v66, v194
	v_add_f32_e32 v4, v6, v4
	v_fma_f32 v6, v88, s16, -v138
	v_fmac_f32_e32 v139, 0xbf4c4adb, v73
	v_fmac_f32_e32 v66, 0x3f06c442, v80
	v_mul_f32_e32 v195, 0xbf65296c, v123
	v_add_f32_e32 v4, v6, v4
	v_add_f32_e32 v6, v33, v139
	v_fmac_f32_e32 v140, 0x3f763a35, v74
	v_add_f32_e32 v66, v66, v65
	v_mov_b32_e32 v65, v195
	v_mul_f32_e32 v196, 0xbf4c4adb, v124
	v_add_f32_e32 v6, v140, v6
	v_fmac_f32_e32 v141, 0xbeb8f4ab, v75
	v_fmac_f32_e32 v65, 0x3ee437d1, v81
	v_mov_b32_e32 v113, v196
	v_add_f32_e32 v6, v141, v6
	v_fmac_f32_e32 v142, 0xbf06c442, v76
	v_add_f32_e32 v65, v32, v65
	v_fmac_f32_e32 v113, 0xbf1a4643, v82
	v_mul_f32_e32 v197, 0x3e3c28d5, v125
	v_add_f32_e32 v6, v142, v6
	v_fmac_f32_e32 v143, 0x3f7ee86f, v77
	v_add_f32_e32 v65, v113, v65
	v_mov_b32_e32 v113, v197
	v_add_f32_e32 v6, v143, v6
	v_fmac_f32_e32 v144, 0xbf2c7751, v78
	v_fmac_f32_e32 v113, 0xbf7ba420, v83
	v_mul_f32_e32 v198, 0x3f763a35, v126
	v_add_f32_e32 v6, v144, v6
	v_fmac_f32_e32 v145, 0xbe3c28d5, v79
	v_add_f32_e32 v65, v113, v65
	v_mov_b32_e32 v113, v198
	v_add_f32_e32 v6, v145, v6
	v_fmac_f32_e32 v146, 0x3f65296c, v80
	v_fmac_f32_e32 v113, 0xbe8c1d8e, v84
	v_mul_f32_e32 v199, 0x3f2c7751, v127
	v_add_f32_e32 v7, v146, v6
	v_fma_f32 v6, v81, s11, -v147
	v_add_f32_e32 v65, v113, v65
	v_mov_b32_e32 v113, v199
	v_add_f32_e32 v6, v32, v6
	v_fma_f32 v8, v82, s16, -v148
	v_fmac_f32_e32 v113, 0x3f3d2fb0, v85
	v_mul_f32_e32 v200, 0xbeb8f4ab, v128
	v_add_f32_e32 v6, v8, v6
	v_fma_f32 v8, v83, s10, -v149
	v_add_f32_e32 v65, v113, v65
	v_mov_b32_e32 v113, v200
	v_add_f32_e32 v6, v8, v6
	v_fma_f32 v8, v84, s9, -v150
	v_fmac_f32_e32 v113, 0x3f6eb680, v86
	v_mul_f32_e32 v201, 0xbf7ee86f, v129
	v_add_f32_e32 v6, v8, v6
	v_fma_f32 v8, v85, s17, -v151
	v_add_f32_e32 v65, v113, v65
	v_mov_b32_e32 v113, v201
	v_add_f32_e32 v6, v8, v6
	v_fma_f32 v8, v86, s14, -v152
	;; [unrolled: 64-line block ×3, first 2 shown]
	v_fmac_f32_e32 v114, 0xbf65296c, v79
	v_mul_f32_e32 v210, 0x3f6eb680, v122
	v_add_f32_e32 v8, v10, v8
	v_fma_f32 v10, v87, s10, -v169
	v_add_f32_e32 v113, v114, v113
	v_mov_b32_e32 v114, v210
	v_add_f32_e32 v8, v10, v8
	v_fma_f32 v10, v88, s11, -v170
	v_fmac_f32_e32 v171, 0xbf7ee86f, v73
	v_fmac_f32_e32 v114, 0xbeb8f4ab, v80
	v_mul_f32_e32 v211, 0xbf2c7751, v123
	v_add_f32_e32 v8, v10, v8
	v_add_f32_e32 v10, v33, v171
	v_fmac_f32_e32 v172, 0xbe3c28d5, v74
	v_add_f32_e32 v114, v114, v113
	v_mov_b32_e32 v113, v211
	v_mul_f32_e32 v212, 0xbf7ee86f, v124
	v_add_f32_e32 v10, v172, v10
	v_fmac_f32_e32 v173, 0x3f763a35, v75
	v_fmac_f32_e32 v113, 0x3f3d2fb0, v81
	v_mov_b32_e32 v213, v212
	v_add_f32_e32 v10, v173, v10
	v_fmac_f32_e32 v174, 0x3eb8f4ab, v76
	v_add_f32_e32 v113, v32, v113
	v_fmac_f32_e32 v213, 0x3dbcf732, v82
	;; [unrolled: 2-line block ×3, first 2 shown]
	v_add_f32_e32 v113, v213, v113
	v_mul_f32_e32 v213, 0xbf4c4adb, v125
	v_add_f32_e32 v10, v175, v10
	v_fmac_f32_e32 v176, 0xbf06c442, v78
	v_mov_b32_e32 v214, v213
	v_add_f32_e32 v10, v176, v10
	v_fmac_f32_e32 v177, 0x3f4c4adb, v79
	v_fmac_f32_e32 v214, 0xbf1a4643, v83
	v_add_f32_e32 v10, v177, v10
	v_fmac_f32_e32 v178, 0x3f2c7751, v80
	v_add_f32_e32 v113, v214, v113
	v_mul_f32_e32 v214, 0xbe3c28d5, v126
	v_add_f32_e32 v11, v178, v10
	v_fma_f32 v10, v81, s17, -v179
	v_mov_b32_e32 v215, v214
	v_add_f32_e32 v10, v32, v10
	v_fma_f32 v34, v82, s8, -v180
	v_fmac_f32_e32 v215, 0xbf7ba420, v84
	v_add_f32_e32 v10, v34, v10
	v_fma_f32 v34, v83, s16, -v181
	v_add_f32_e32 v113, v215, v113
	v_mul_f32_e32 v215, 0x3f06c442, v127
	v_add_f32_e32 v10, v34, v10
	v_fma_f32 v34, v84, s10, -v182
	v_mov_b32_e32 v216, v215
	v_add_f32_e32 v10, v34, v10
	v_fma_f32 v34, v85, s15, -v183
	v_fmac_f32_e32 v216, 0xbf59a7d5, v85
	v_add_f32_e32 v10, v34, v10
	v_fma_f32 v34, v86, s9, -v184
	v_add_f32_e32 v113, v216, v113
	v_mul_f32_e32 v216, 0x3f763a35, v128
	v_add_f32_e32 v10, v34, v10
	v_fma_f32 v34, v87, s11, -v185
	v_mov_b32_e32 v217, v216
	v_add_f32_e32 v10, v34, v10
	v_fma_f32 v34, v88, s14, -v186
	v_fmac_f32_e32 v187, 0xbf65296c, v73
	v_fmac_f32_e32 v217, 0xbe8c1d8e, v86
	v_add_f32_e32 v10, v34, v10
	v_add_f32_e32 v34, v33, v187
	v_fmac_f32_e32 v188, 0xbf4c4adb, v74
	v_add_f32_e32 v113, v217, v113
	v_mul_f32_e32 v217, 0x3f65296c, v129
	v_add_f32_e32 v34, v188, v34
	v_fmac_f32_e32 v189, 0x3e3c28d5, v75
	v_mov_b32_e32 v218, v217
	v_add_f32_e32 v34, v189, v34
	v_fmac_f32_e32 v190, 0x3f763a35, v76
	v_fmac_f32_e32 v218, 0x3ee437d1, v87
	v_add_f32_e32 v34, v190, v34
	v_fmac_f32_e32 v191, 0x3f2c7751, v77
	v_add_f32_e32 v113, v218, v113
	v_mul_f32_e32 v218, 0x3eb8f4ab, v130
	v_add_f32_e32 v34, v191, v34
	v_fmac_f32_e32 v192, 0xbeb8f4ab, v78
	v_mov_b32_e32 v219, v218
	v_add_f32_e32 v34, v192, v34
	v_fmac_f32_e32 v193, 0xbf7ee86f, v79
	v_fmac_f32_e32 v219, 0x3f6eb680, v88
	v_add_f32_e32 v34, v193, v34
	v_fmac_f32_e32 v194, 0xbf06c442, v80
	v_add_f32_e32 v113, v219, v113
	v_mul_f32_e32 v219, 0x3f6eb680, v115
	v_add_f32_e32 v35, v194, v34
	v_fma_f32 v34, v81, s15, -v195
	v_mov_b32_e32 v115, v219
	v_mul_f32_e32 v220, 0x3f3d2fb0, v116
	v_add_f32_e32 v34, v32, v34
	v_fma_f32 v36, v82, s11, -v196
	v_fmac_f32_e32 v115, 0x3eb8f4ab, v73
	v_mov_b32_e32 v116, v220
	v_add_f32_e32 v34, v36, v34
	v_fma_f32 v36, v83, s8, -v197
	v_add_f32_e32 v115, v33, v115
	v_fmac_f32_e32 v116, 0x3f2c7751, v74
	v_mul_f32_e32 v117, 0x3ee437d1, v117
	v_add_f32_e32 v34, v36, v34
	v_fma_f32 v36, v84, s16, -v198
	v_add_f32_e32 v115, v116, v115
	v_mov_b32_e32 v116, v117
	v_add_f32_e32 v34, v36, v34
	v_fma_f32 v36, v85, s14, -v199
	v_fmac_f32_e32 v116, 0x3f65296c, v75
	v_mul_f32_e32 v118, 0x3dbcf732, v118
	v_add_f32_e32 v34, v36, v34
	v_fma_f32 v36, v86, s10, -v200
	v_add_f32_e32 v115, v116, v115
	v_mov_b32_e32 v116, v118
	v_add_f32_e32 v34, v36, v34
	v_fma_f32 v36, v87, s17, -v201
	v_fmac_f32_e32 v116, 0x3f7ee86f, v76
	v_mul_f32_e32 v119, 0xbe8c1d8e, v119
	v_add_f32_e32 v34, v36, v34
	v_fma_f32 v36, v88, s9, -v202
	v_fmac_f32_e32 v203, 0xbf2c7751, v73
	v_add_f32_e32 v115, v116, v115
	v_mov_b32_e32 v116, v119
	v_add_f32_e32 v34, v36, v34
	v_add_f32_e32 v36, v33, v203
	v_fmac_f32_e32 v204, 0xbf7ee86f, v74
	v_fmac_f32_e32 v116, 0x3f763a35, v77
	v_mul_f32_e32 v120, 0xbf1a4643, v120
	v_add_f32_e32 v36, v204, v36
	v_fmac_f32_e32 v205, 0xbf4c4adb, v75
	v_add_f32_e32 v115, v116, v115
	v_mov_b32_e32 v116, v120
	v_add_f32_e32 v36, v205, v36
	v_fmac_f32_e32 v206, 0xbe3c28d5, v76
	v_fmac_f32_e32 v116, 0x3f4c4adb, v78
	v_mul_f32_e32 v121, 0xbf59a7d5, v121
	v_add_f32_e32 v36, v206, v36
	v_fmac_f32_e32 v207, 0x3f06c442, v77
	v_add_f32_e32 v115, v116, v115
	v_mov_b32_e32 v116, v121
	;; [unrolled: 8-line block ×3, first 2 shown]
	v_add_f32_e32 v36, v209, v36
	v_fmac_f32_e32 v210, 0x3eb8f4ab, v80
	v_fmac_f32_e32 v116, 0x3e3c28d5, v80
	v_mul_f32_e32 v123, 0xbeb8f4ab, v123
	v_add_f32_e32 v37, v210, v36
	v_fma_f32 v36, v81, s14, -v211
	v_add_f32_e32 v116, v116, v115
	v_mov_b32_e32 v115, v123
	v_mul_f32_e32 v124, 0xbf2c7751, v124
	v_add_f32_e32 v36, v32, v36
	v_fma_f32 v38, v82, s17, -v212
	v_fmac_f32_e32 v115, 0x3f6eb680, v81
	v_mov_b32_e32 v221, v124
	v_add_f32_e32 v36, v38, v36
	v_fma_f32 v38, v83, s11, -v213
	v_add_f32_e32 v115, v32, v115
	v_fmac_f32_e32 v221, 0x3f3d2fb0, v82
	v_mul_f32_e32 v125, 0xbf65296c, v125
	v_add_f32_e32 v36, v38, v36
	v_fma_f32 v38, v84, s8, -v214
	v_add_f32_e32 v115, v221, v115
	v_mov_b32_e32 v221, v125
	v_add_f32_e32 v36, v38, v36
	v_fma_f32 v38, v85, s9, -v215
	v_fmac_f32_e32 v221, 0x3ee437d1, v83
	v_mul_f32_e32 v126, 0xbf7ee86f, v126
	v_add_f32_e32 v36, v38, v36
	v_fma_f32 v38, v86, s16, -v216
	v_add_f32_e32 v115, v221, v115
	v_mov_b32_e32 v221, v126
	v_add_f32_e32 v36, v38, v36
	v_fma_f32 v38, v87, s15, -v217
	;; [unrolled: 8-line block ×3, first 2 shown]
	v_fmac_f32_e32 v221, 0xbe8c1d8e, v85
	v_mul_f32_e32 v128, 0xbf4c4adb, v128
	v_fmac_f32_e32 v219, 0xbeb8f4ab, v73
	v_add_f32_e32 v32, v32, v38
	v_fma_f32 v38, v82, s14, -v124
	v_add_f32_e32 v115, v221, v115
	v_mov_b32_e32 v221, v128
	v_add_f32_e32 v33, v33, v219
	v_fmac_f32_e32 v220, 0xbf2c7751, v74
	v_add_f32_e32 v32, v38, v32
	v_fma_f32 v38, v83, s15, -v125
	v_fmac_f32_e32 v221, 0xbf1a4643, v86
	v_mul_f32_e32 v129, 0xbf06c442, v129
	v_add_f32_e32 v33, v220, v33
	v_fmac_f32_e32 v117, 0xbf65296c, v75
	v_add_f32_e32 v32, v38, v32
	v_fma_f32 v38, v84, s17, -v126
	v_add_f32_e32 v115, v221, v115
	v_mov_b32_e32 v221, v129
	v_add_f32_e32 v33, v117, v33
	v_fmac_f32_e32 v118, 0xbf7ee86f, v76
	v_add_f32_e32 v32, v38, v32
	v_fma_f32 v38, v85, s16, -v127
	v_fmac_f32_e32 v221, 0xbf59a7d5, v87
	v_mul_f32_e32 v130, 0xbe3c28d5, v130
	v_add_f32_e32 v33, v118, v33
	v_fmac_f32_e32 v119, 0xbf763a35, v77
	v_add_f32_e32 v32, v38, v32
	v_fma_f32 v38, v86, s11, -v128
	v_add_f32_e32 v115, v221, v115
	v_mov_b32_e32 v221, v130
	v_add_f32_e32 v33, v119, v33
	v_fmac_f32_e32 v120, 0xbf4c4adb, v78
	v_add_f32_e32 v32, v38, v32
	v_fma_f32 v38, v87, s9, -v129
	v_fmac_f32_e32 v221, 0xbf7ba420, v88
	v_add_f32_e32 v33, v120, v33
	v_fmac_f32_e32 v121, 0xbf06c442, v79
	v_add_f32_e32 v32, v38, v32
	v_fma_f32 v38, v88, s8, -v130
	v_add_f32_e32 v115, v221, v115
	v_add_f32_e32 v1, v54, v1
	v_add_f32_e32 v0, v53, v0
	v_add_f32_e32 v33, v121, v33
	v_fmac_f32_e32 v122, 0xbe3c28d5, v80
	v_add_f32_e32 v32, v38, v32
	v_lshl_add_u32 v38, v70, 3, v69
	v_add_f32_e32 v33, v122, v33
	ds_write2_b64 v38, v[0:1], v[115:116] offset1:1
	ds_write2_b64 v38, v[113:114], v[65:66] offset0:2 offset1:3
	ds_write2_b64 v38, v[63:64], v[61:62] offset0:4 offset1:5
	;; [unrolled: 1-line block ×7, first 2 shown]
	ds_write_b64 v38, v[32:33] offset:128
.LBB0_13:
	s_or_b64 exec, exec, s[4:5]
	s_waitcnt lgkmcnt(0)
	s_barrier
	ds_read2_b64 v[0:3], v72 offset1:17
	ds_read2_b64 v[4:7], v72 offset0:34 offset1:51
	ds_read2_b64 v[8:11], v72 offset0:68 offset1:85
	;; [unrolled: 1-line block ×4, first 2 shown]
	ds_read_b64 v[40:41], v72 offset:1360
	s_waitcnt lgkmcnt(5)
	v_mul_f32_e32 v42, v25, v3
	v_fmac_f32_e32 v42, v24, v2
	v_mul_f32_e32 v2, v25, v2
	v_fma_f32 v24, v24, v3, -v2
	s_waitcnt lgkmcnt(4)
	v_mul_f32_e32 v25, v27, v5
	v_mul_f32_e32 v2, v27, v4
	v_fmac_f32_e32 v25, v26, v4
	v_fma_f32 v4, v26, v5, -v2
	v_mul_f32_e32 v5, v21, v7
	v_mul_f32_e32 v2, v21, v6
	v_fmac_f32_e32 v5, v20, v6
	v_fma_f32 v6, v20, v7, -v2
	s_waitcnt lgkmcnt(3)
	v_mul_f32_e32 v7, v23, v9
	v_mul_f32_e32 v2, v23, v8
	v_fmac_f32_e32 v7, v22, v8
	v_fma_f32 v8, v22, v9, -v2
	v_mul_f32_e32 v9, v17, v11
	v_mul_f32_e32 v2, v17, v10
	v_fmac_f32_e32 v9, v16, v10
	v_fma_f32 v10, v16, v11, -v2
	s_waitcnt lgkmcnt(2)
	v_mul_f32_e32 v2, v19, v32
	v_fma_f32 v16, v18, v33, -v2
	v_mul_f32_e32 v17, v13, v35
	v_mul_f32_e32 v2, v13, v34
	v_add_f32_e32 v3, v1, v24
	v_fmac_f32_e32 v17, v12, v34
	v_fma_f32 v12, v12, v35, -v2
	s_waitcnt lgkmcnt(1)
	v_mul_f32_e32 v13, v15, v37
	v_mul_f32_e32 v2, v15, v36
	v_add_f32_e32 v3, v3, v4
	v_mul_f32_e32 v11, v19, v33
	v_fmac_f32_e32 v13, v14, v36
	v_fma_f32 v14, v14, v37, -v2
	v_mul_f32_e32 v2, v29, v38
	v_add_f32_e32 v3, v3, v6
	v_fmac_f32_e32 v11, v18, v32
	v_fma_f32 v18, v28, v39, -v2
	s_waitcnt lgkmcnt(0)
	v_mul_f32_e32 v2, v31, v40
	v_add_f32_e32 v3, v3, v8
	v_fma_f32 v20, v30, v41, -v2
	v_add_f32_e32 v2, v0, v42
	v_add_f32_e32 v3, v3, v10
	v_add_f32_e32 v2, v2, v25
	v_add_f32_e32 v3, v3, v16
	v_add_f32_e32 v2, v2, v5
	v_add_f32_e32 v3, v3, v12
	v_add_f32_e32 v2, v2, v7
	v_add_f32_e32 v3, v3, v14
	v_add_f32_e32 v2, v2, v9
	v_add_f32_e32 v3, v3, v18
	v_mul_f32_e32 v15, v29, v39
	v_mul_f32_e32 v19, v31, v41
	v_add_f32_e32 v2, v2, v11
	v_add_f32_e32 v3, v3, v20
	;; [unrolled: 1-line block ×3, first 2 shown]
	v_sub_f32_e32 v20, v24, v20
	v_fmac_f32_e32 v15, v28, v38
	v_fmac_f32_e32 v19, v30, v40
	v_add_f32_e32 v2, v2, v17
	v_mul_f32_e32 v23, 0xbf0a6770, v20
	v_mul_f32_e32 v28, 0xbf68dda4, v20
	;; [unrolled: 1-line block ×5, first 2 shown]
	v_add_f32_e32 v2, v2, v13
	v_add_f32_e32 v21, v42, v19
	s_mov_b32 s8, 0x3f575c64
	v_mov_b32_e32 v24, v23
	s_mov_b32 s4, 0x3ed4b147
	v_mov_b32_e32 v29, v28
	s_mov_b32 s5, 0xbe11bafb
	v_mov_b32_e32 v33, v32
	s_mov_b32 s9, 0xbf27a4f4
	v_mov_b32_e32 v37, v36
	s_mov_b32 s10, 0xbf75a155
	v_mov_b32_e32 v40, v20
	v_add_f32_e32 v2, v2, v15
	v_fmac_f32_e32 v24, 0x3f575c64, v21
	v_mul_f32_e32 v26, 0x3f575c64, v22
	v_fma_f32 v23, v21, s8, -v23
	v_fmac_f32_e32 v29, 0x3ed4b147, v21
	v_mul_f32_e32 v30, 0x3ed4b147, v22
	v_fma_f32 v28, v21, s4, -v28
	v_fmac_f32_e32 v33, 0xbe11bafb, v21
	v_mul_f32_e32 v34, 0xbe11bafb, v22
	v_fma_f32 v32, v21, s5, -v32
	v_fmac_f32_e32 v37, 0xbf27a4f4, v21
	v_mul_f32_e32 v38, 0xbf27a4f4, v22
	v_fma_f32 v36, v21, s9, -v36
	v_fmac_f32_e32 v40, 0xbf75a155, v21
	v_mul_f32_e32 v22, 0xbf75a155, v22
	v_fma_f32 v20, v21, s10, -v20
	v_add_f32_e32 v2, v2, v19
	v_sub_f32_e32 v19, v42, v19
	v_add_f32_e32 v24, v0, v24
	v_mov_b32_e32 v27, v26
	v_add_f32_e32 v23, v0, v23
	v_add_f32_e32 v29, v0, v29
	v_mov_b32_e32 v31, v30
	v_add_f32_e32 v28, v0, v28
	;; [unrolled: 3-line block ×5, first 2 shown]
	v_add_f32_e32 v20, v4, v18
	v_sub_f32_e32 v4, v4, v18
	v_fmac_f32_e32 v27, 0x3f0a6770, v19
	v_fmac_f32_e32 v26, 0xbf0a6770, v19
	;; [unrolled: 1-line block ×10, first 2 shown]
	v_add_f32_e32 v19, v25, v15
	v_mul_f32_e32 v18, 0xbf68dda4, v4
	v_mov_b32_e32 v21, v18
	v_fma_f32 v18, v19, s4, -v18
	v_add_f32_e32 v27, v1, v27
	v_add_f32_e32 v26, v1, v26
	;; [unrolled: 1-line block ×10, first 2 shown]
	v_sub_f32_e32 v15, v25, v15
	v_fmac_f32_e32 v21, 0x3ed4b147, v19
	v_mul_f32_e32 v22, 0x3ed4b147, v20
	v_add_f32_e32 v18, v18, v23
	v_mul_f32_e32 v23, 0xbf4178ce, v4
	v_add_f32_e32 v21, v21, v24
	v_mov_b32_e32 v24, v22
	v_fmac_f32_e32 v22, 0xbf68dda4, v15
	v_mov_b32_e32 v25, v23
	v_fma_f32 v23, v19, s9, -v23
	v_fmac_f32_e32 v24, 0x3f68dda4, v15
	v_add_f32_e32 v22, v22, v26
	v_fmac_f32_e32 v25, 0xbf27a4f4, v19
	v_mul_f32_e32 v26, 0xbf27a4f4, v20
	v_add_f32_e32 v23, v23, v28
	v_mul_f32_e32 v28, 0x3e903f40, v4
	v_add_f32_e32 v24, v24, v27
	v_add_f32_e32 v25, v25, v29
	v_mov_b32_e32 v27, v26
	v_fmac_f32_e32 v26, 0xbf4178ce, v15
	v_mov_b32_e32 v29, v28
	v_fma_f32 v28, v19, s10, -v28
	v_fmac_f32_e32 v27, 0x3f4178ce, v15
	v_add_f32_e32 v26, v26, v30
	v_fmac_f32_e32 v29, 0xbf75a155, v19
	v_mul_f32_e32 v30, 0xbf75a155, v20
	v_add_f32_e32 v28, v28, v32
	v_mul_f32_e32 v32, 0x3f7d64f0, v4
	v_add_f32_e32 v27, v27, v31
	v_add_f32_e32 v29, v29, v33
	v_mov_b32_e32 v31, v30
	v_fmac_f32_e32 v30, 0x3e903f40, v15
	v_mov_b32_e32 v33, v32
	v_fmac_f32_e32 v31, 0xbe903f40, v15
	v_add_f32_e32 v30, v30, v34
	v_fmac_f32_e32 v33, 0xbe11bafb, v19
	v_mul_f32_e32 v34, 0xbe11bafb, v20
	v_mul_f32_e32 v20, 0x3f575c64, v20
	v_add_f32_e32 v31, v31, v35
	v_add_f32_e32 v33, v33, v37
	v_mov_b32_e32 v35, v34
	v_fma_f32 v32, v19, s5, -v32
	v_mul_f32_e32 v4, 0x3f0a6770, v4
	v_mov_b32_e32 v37, v20
	v_fmac_f32_e32 v35, 0xbf7d64f0, v15
	v_add_f32_e32 v32, v32, v36
	v_fmac_f32_e32 v34, 0x3f7d64f0, v15
	v_mov_b32_e32 v36, v4
	v_fmac_f32_e32 v37, 0xbf0a6770, v15
	v_fma_f32 v4, v19, s8, -v4
	v_fmac_f32_e32 v20, 0x3f0a6770, v15
	v_add_f32_e32 v15, v6, v14
	v_sub_f32_e32 v6, v6, v14
	v_fmac_f32_e32 v36, 0x3f575c64, v19
	v_add_f32_e32 v0, v4, v0
	v_add_f32_e32 v4, v5, v13
	v_sub_f32_e32 v5, v5, v13
	v_mul_f32_e32 v13, 0xbf7d64f0, v6
	v_mul_f32_e32 v19, 0xbe11bafb, v15
	v_add_f32_e32 v1, v20, v1
	v_mov_b32_e32 v14, v13
	v_mov_b32_e32 v20, v19
	v_fma_f32 v13, v4, s5, -v13
	v_fmac_f32_e32 v19, 0xbf7d64f0, v5
	v_fmac_f32_e32 v14, 0xbe11bafb, v4
	v_add_f32_e32 v13, v13, v18
	v_add_f32_e32 v18, v19, v22
	v_mul_f32_e32 v19, 0x3e903f40, v6
	v_add_f32_e32 v14, v14, v21
	v_mov_b32_e32 v21, v19
	v_fma_f32 v19, v4, s10, -v19
	v_fmac_f32_e32 v21, 0xbf75a155, v4
	v_add_f32_e32 v19, v19, v23
	v_mul_f32_e32 v23, 0x3f68dda4, v6
	v_fmac_f32_e32 v20, 0x3f7d64f0, v5
	v_add_f32_e32 v21, v21, v25
	v_mul_f32_e32 v22, 0xbf75a155, v15
	v_mov_b32_e32 v25, v23
	v_fma_f32 v23, v4, s4, -v23
	v_add_f32_e32 v20, v20, v24
	v_mov_b32_e32 v24, v22
	v_fmac_f32_e32 v22, 0x3e903f40, v5
	v_fmac_f32_e32 v25, 0x3ed4b147, v4
	v_add_f32_e32 v23, v23, v28
	v_mul_f32_e32 v28, 0xbf0a6770, v6
	v_fmac_f32_e32 v24, 0xbe903f40, v5
	v_add_f32_e32 v22, v22, v26
	v_add_f32_e32 v25, v25, v29
	v_mul_f32_e32 v26, 0x3ed4b147, v15
	v_mov_b32_e32 v29, v28
	v_fma_f32 v28, v4, s8, -v28
	v_mul_f32_e32 v6, 0xbf4178ce, v6
	v_add_f32_e32 v24, v24, v27
	v_mov_b32_e32 v27, v26
	v_fmac_f32_e32 v26, 0x3f68dda4, v5
	v_add_f32_e32 v28, v28, v32
	v_mov_b32_e32 v32, v6
	v_fmac_f32_e32 v27, 0xbf68dda4, v5
	v_add_f32_e32 v26, v26, v30
	v_fmac_f32_e32 v29, 0x3f575c64, v4
	v_mul_f32_e32 v30, 0x3f575c64, v15
	v_fmac_f32_e32 v32, 0xbf27a4f4, v4
	v_mul_f32_e32 v15, 0xbf27a4f4, v15
	v_fma_f32 v4, v4, s9, -v6
	v_add_f32_e32 v27, v27, v31
	v_add_f32_e32 v29, v29, v33
	v_mov_b32_e32 v31, v30
	v_mov_b32_e32 v33, v15
	v_add_f32_e32 v0, v4, v0
	v_add_f32_e32 v4, v7, v17
	v_sub_f32_e32 v6, v7, v17
	v_sub_f32_e32 v7, v8, v12
	v_fmac_f32_e32 v31, 0x3f0a6770, v5
	v_fmac_f32_e32 v30, 0xbf0a6770, v5
	;; [unrolled: 1-line block ×4, first 2 shown]
	v_add_f32_e32 v5, v8, v12
	v_mul_f32_e32 v8, 0xbf4178ce, v7
	v_mov_b32_e32 v12, v8
	v_fmac_f32_e32 v12, 0xbf27a4f4, v4
	v_add_f32_e32 v12, v12, v14
	v_mul_f32_e32 v14, 0xbf27a4f4, v5
	v_add_f32_e32 v1, v15, v1
	v_mov_b32_e32 v15, v14
	v_fma_f32 v8, v4, s9, -v8
	v_fmac_f32_e32 v14, 0xbf4178ce, v6
	v_add_f32_e32 v8, v8, v13
	v_add_f32_e32 v13, v14, v18
	v_mul_f32_e32 v14, 0x3f7d64f0, v7
	v_mov_b32_e32 v17, v14
	v_fma_f32 v14, v4, s5, -v14
	v_fmac_f32_e32 v15, 0x3f4178ce, v6
	v_fmac_f32_e32 v17, 0xbe11bafb, v4
	v_mul_f32_e32 v18, 0xbe11bafb, v5
	v_add_f32_e32 v14, v14, v19
	v_mul_f32_e32 v19, 0xbf0a6770, v7
	v_add_f32_e32 v15, v15, v20
	v_add_f32_e32 v17, v17, v21
	v_mov_b32_e32 v20, v18
	v_fmac_f32_e32 v18, 0x3f7d64f0, v6
	v_mov_b32_e32 v21, v19
	v_fma_f32 v19, v4, s8, -v19
	v_fmac_f32_e32 v20, 0xbf7d64f0, v6
	v_add_f32_e32 v18, v18, v22
	v_fmac_f32_e32 v21, 0x3f575c64, v4
	v_mul_f32_e32 v22, 0x3f575c64, v5
	v_add_f32_e32 v19, v19, v23
	v_mul_f32_e32 v23, 0xbe903f40, v7
	v_add_f32_e32 v20, v20, v24
	v_add_f32_e32 v21, v21, v25
	v_mov_b32_e32 v24, v22
	v_fmac_f32_e32 v22, 0xbf0a6770, v6
	v_mov_b32_e32 v25, v23
	v_fma_f32 v23, v4, s10, -v23
	v_mul_f32_e32 v7, 0x3f68dda4, v7
	v_add_f32_e32 v35, v35, v39
	v_add_f32_e32 v34, v34, v38
	v_fmac_f32_e32 v24, 0x3f0a6770, v6
	v_add_f32_e32 v22, v22, v26
	v_mul_f32_e32 v26, 0xbf75a155, v5
	v_add_f32_e32 v23, v23, v28
	v_mov_b32_e32 v28, v7
	v_add_f32_e32 v36, v36, v40
	v_add_f32_e32 v31, v31, v35
	;; [unrolled: 1-line block ×4, first 2 shown]
	v_fmac_f32_e32 v25, 0xbf75a155, v4
	v_mov_b32_e32 v27, v26
	v_fmac_f32_e32 v26, 0xbe903f40, v6
	v_fmac_f32_e32 v28, 0x3ed4b147, v4
	v_mul_f32_e32 v5, 0x3ed4b147, v5
	v_fma_f32 v4, v4, s4, -v7
	v_sub_f32_e32 v35, v10, v16
	v_add_f32_e32 v37, v37, v41
	v_add_f32_e32 v32, v32, v36
	v_add_f32_e32 v25, v25, v29
	v_add_f32_e32 v26, v26, v30
	v_mov_b32_e32 v29, v5
	v_add_f32_e32 v30, v4, v0
	v_mul_f32_e32 v4, 0xbe903f40, v35
	v_add_f32_e32 v33, v33, v37
	v_add_f32_e32 v28, v28, v32
	v_fmac_f32_e32 v29, 0xbf68dda4, v6
	v_add_f32_e32 v32, v9, v11
	v_mov_b32_e32 v0, v4
	v_add_f32_e32 v29, v29, v33
	v_add_f32_e32 v33, v10, v16
	v_fmac_f32_e32 v0, 0xbf75a155, v32
	v_fma_f32 v4, v32, s10, -v4
	v_fmac_f32_e32 v27, 0x3e903f40, v6
	v_fmac_f32_e32 v5, 0x3f68dda4, v6
	v_sub_f32_e32 v34, v9, v11
	v_add_f32_e32 v0, v0, v12
	v_add_f32_e32 v4, v4, v8
	v_mul_f32_e32 v8, 0x3f0a6770, v35
	v_mul_f32_e32 v9, 0x3f575c64, v33
	;; [unrolled: 1-line block ×3, first 2 shown]
	v_add_f32_e32 v27, v27, v31
	v_add_f32_e32 v31, v5, v1
	v_mul_f32_e32 v5, 0xbf75a155, v33
	v_mov_b32_e32 v6, v8
	v_mov_b32_e32 v7, v9
	;; [unrolled: 1-line block ×4, first 2 shown]
	v_fmac_f32_e32 v5, 0xbe903f40, v34
	v_fmac_f32_e32 v6, 0x3f575c64, v32
	v_fmac_f32_e32 v7, 0xbf0a6770, v34
	v_fmac_f32_e32 v10, 0xbf27a4f4, v32
	v_fmac_f32_e32 v1, 0x3e903f40, v34
	v_add_f32_e32 v5, v5, v13
	v_add_f32_e32 v6, v6, v17
	;; [unrolled: 1-line block ×3, first 2 shown]
	v_fma_f32 v8, v32, s8, -v8
	v_fmac_f32_e32 v9, 0x3f0a6770, v34
	v_add_f32_e32 v10, v10, v21
	v_mul_f32_e32 v13, 0xbf27a4f4, v33
	v_fma_f32 v12, v32, s9, -v12
	v_mul_f32_e32 v16, 0x3f68dda4, v35
	v_mul_f32_e32 v17, 0x3ed4b147, v33
	;; [unrolled: 1-line block ×4, first 2 shown]
	v_add_f32_e32 v1, v1, v15
	v_add_f32_e32 v8, v8, v14
	v_add_f32_e32 v9, v9, v18
	v_mov_b32_e32 v11, v13
	v_add_f32_e32 v12, v12, v19
	v_mov_b32_e32 v14, v16
	v_mov_b32_e32 v15, v17
	;; [unrolled: 1-line block ×4, first 2 shown]
	v_fmac_f32_e32 v11, 0x3f4178ce, v34
	v_fmac_f32_e32 v13, 0xbf4178ce, v34
	;; [unrolled: 1-line block ×4, first 2 shown]
	v_fma_f32 v16, v32, s4, -v16
	v_fmac_f32_e32 v17, 0x3f68dda4, v34
	v_fmac_f32_e32 v18, 0xbe11bafb, v32
	;; [unrolled: 1-line block ×3, first 2 shown]
	v_fma_f32 v20, v32, s5, -v20
	v_fmac_f32_e32 v21, 0xbf7d64f0, v34
	v_add_f32_e32 v11, v11, v24
	v_add_f32_e32 v13, v13, v22
	v_add_f32_e32 v14, v14, v25
	v_add_f32_e32 v15, v15, v27
	v_add_f32_e32 v16, v16, v23
	v_add_f32_e32 v17, v17, v26
	v_add_f32_e32 v18, v18, v28
	v_add_f32_e32 v19, v19, v29
	v_add_f32_e32 v20, v20, v30
	v_add_f32_e32 v21, v21, v31
	ds_write2_b64 v71, v[2:3], v[0:1] offset1:17
	ds_write2_b64 v71, v[6:7], v[10:11] offset0:34 offset1:51
	ds_write2_b64 v71, v[14:15], v[18:19] offset0:68 offset1:85
	;; [unrolled: 1-line block ×4, first 2 shown]
	ds_write_b64 v71, v[4:5] offset:1360
	s_waitcnt lgkmcnt(0)
	s_barrier
	s_and_b64 exec, exec, vcc
	s_cbranch_execz .LBB0_15
; %bb.14:
	global_load_dwordx2 v[0:1], v68, s[6:7]
	ds_read_b64 v[4:5], v71
	v_mad_u64_u32 v[2:3], s[4:5], s2, v52, 0
	v_mad_u64_u32 v[6:7], s[4:5], s0, v67, 0
	s_waitcnt lgkmcnt(0)
	v_mad_u64_u32 v[8:9], s[2:3], s3, v52, v[3:4]
	s_mov_b32 s4, 0xb8d015e7
	s_mov_b32 s5, 0x3f75e75b
	v_mad_u64_u32 v[9:10], s[2:3], s1, v67, v[7:8]
	v_mov_b32_e32 v11, s13
	s_mul_i32 s3, s1, 0x58
	v_mov_b32_e32 v7, v9
	v_lshlrev_b64 v[6:7], 3, v[6:7]
	s_mul_hi_u32 s8, s0, 0x58
	s_mul_i32 s2, s0, 0x58
	s_add_i32 s3, s8, s3
	s_waitcnt vmcnt(0)
	v_mul_f32_e32 v3, v5, v1
	v_mul_f32_e32 v1, v4, v1
	v_fmac_f32_e32 v3, v4, v0
	v_fma_f32 v4, v0, v5, -v1
	v_cvt_f64_f32_e32 v[0:1], v3
	v_cvt_f64_f32_e32 v[4:5], v4
	v_mov_b32_e32 v3, v8
	v_lshlrev_b64 v[2:3], 3, v[2:3]
	v_mul_f64 v[0:1], v[0:1], s[4:5]
	v_mul_f64 v[4:5], v[4:5], s[4:5]
	v_add_co_u32_e32 v8, vcc, s12, v2
	v_addc_co_u32_e32 v9, vcc, v11, v3, vcc
	v_cvt_f32_f64_e32 v0, v[0:1]
	v_cvt_f32_f64_e32 v1, v[4:5]
	v_add_co_u32_e32 v4, vcc, v8, v6
	v_addc_co_u32_e32 v5, vcc, v9, v7, vcc
	global_store_dwordx2 v[4:5], v[0:1], off
	global_load_dwordx2 v[6:7], v68, s[6:7] offset:88
	ds_read2_b64 v[0:3], v71 offset0:11 offset1:22
	v_add_co_u32_e32 v4, vcc, s2, v4
	s_waitcnt vmcnt(0) lgkmcnt(0)
	v_mul_f32_e32 v10, v1, v7
	v_mul_f32_e32 v7, v0, v7
	v_fmac_f32_e32 v10, v0, v6
	v_fma_f32 v6, v6, v1, -v7
	v_cvt_f64_f32_e32 v[0:1], v10
	v_cvt_f64_f32_e32 v[6:7], v6
	v_mov_b32_e32 v10, s3
	v_addc_co_u32_e32 v5, vcc, v5, v10, vcc
	v_mul_f64 v[0:1], v[0:1], s[4:5]
	v_mul_f64 v[6:7], v[6:7], s[4:5]
	v_cvt_f32_f64_e32 v0, v[0:1]
	v_cvt_f32_f64_e32 v1, v[6:7]
	global_store_dwordx2 v[4:5], v[0:1], off
	global_load_dwordx2 v[0:1], v68, s[6:7] offset:176
	v_add_co_u32_e32 v4, vcc, s2, v4
	s_waitcnt vmcnt(0)
	v_mul_f32_e32 v6, v3, v1
	v_mul_f32_e32 v1, v2, v1
	v_fmac_f32_e32 v6, v2, v0
	v_fma_f32 v2, v0, v3, -v1
	v_cvt_f64_f32_e32 v[0:1], v6
	v_cvt_f64_f32_e32 v[2:3], v2
	v_mov_b32_e32 v6, s3
	v_addc_co_u32_e32 v5, vcc, v5, v6, vcc
	v_mul_f64 v[0:1], v[0:1], s[4:5]
	v_mul_f64 v[2:3], v[2:3], s[4:5]
	v_cvt_f32_f64_e32 v0, v[0:1]
	v_cvt_f32_f64_e32 v1, v[2:3]
	global_store_dwordx2 v[4:5], v[0:1], off
	global_load_dwordx2 v[6:7], v68, s[6:7] offset:264
	ds_read2_b64 v[0:3], v71 offset0:33 offset1:44
	v_add_co_u32_e32 v4, vcc, s2, v4
	s_waitcnt vmcnt(0) lgkmcnt(0)
	v_mul_f32_e32 v10, v1, v7
	v_mul_f32_e32 v7, v0, v7
	v_fmac_f32_e32 v10, v0, v6
	v_fma_f32 v6, v6, v1, -v7
	v_cvt_f64_f32_e32 v[0:1], v10
	v_cvt_f64_f32_e32 v[6:7], v6
	v_mov_b32_e32 v10, s3
	v_addc_co_u32_e32 v5, vcc, v5, v10, vcc
	v_mul_f64 v[0:1], v[0:1], s[4:5]
	v_mul_f64 v[6:7], v[6:7], s[4:5]
	v_cvt_f32_f64_e32 v0, v[0:1]
	v_cvt_f32_f64_e32 v1, v[6:7]
	global_store_dwordx2 v[4:5], v[0:1], off
	global_load_dwordx2 v[0:1], v68, s[6:7] offset:352
	v_add_co_u32_e32 v4, vcc, s2, v4
	s_waitcnt vmcnt(0)
	v_mul_f32_e32 v6, v3, v1
	v_mul_f32_e32 v1, v2, v1
	v_fmac_f32_e32 v6, v2, v0
	v_fma_f32 v2, v0, v3, -v1
	v_cvt_f64_f32_e32 v[0:1], v6
	v_cvt_f64_f32_e32 v[2:3], v2
	v_mov_b32_e32 v6, s3
	v_addc_co_u32_e32 v5, vcc, v5, v6, vcc
	v_mul_f64 v[0:1], v[0:1], s[4:5]
	v_mul_f64 v[2:3], v[2:3], s[4:5]
	v_cvt_f32_f64_e32 v0, v[0:1]
	v_cvt_f32_f64_e32 v1, v[2:3]
	;; [unrolled: 33-line block ×7, first 2 shown]
	global_store_dwordx2 v[4:5], v[0:1], off
	global_load_dwordx2 v[6:7], v68, s[6:7] offset:1320
	ds_read2_b64 v[0:3], v71 offset0:165 offset1:176
	v_add_co_u32_e32 v4, vcc, s2, v4
	s_waitcnt vmcnt(0) lgkmcnt(0)
	v_mul_f32_e32 v10, v1, v7
	v_mul_f32_e32 v7, v0, v7
	v_fmac_f32_e32 v10, v0, v6
	v_fma_f32 v6, v6, v1, -v7
	v_cvt_f64_f32_e32 v[0:1], v10
	v_cvt_f64_f32_e32 v[6:7], v6
	v_mov_b32_e32 v10, s3
	v_addc_co_u32_e32 v5, vcc, v5, v10, vcc
	v_mul_f64 v[0:1], v[0:1], s[4:5]
	v_mul_f64 v[6:7], v[6:7], s[4:5]
	v_cvt_f32_f64_e32 v0, v[0:1]
	v_cvt_f32_f64_e32 v1, v[6:7]
	v_or_b32_e32 v6, 0xb0, v67
	global_store_dwordx2 v[4:5], v[0:1], off
	global_load_dwordx2 v[0:1], v68, s[6:7] offset:1408
	v_mad_u64_u32 v[4:5], s[2:3], s0, v6, 0
	v_mad_u64_u32 v[5:6], s[0:1], s1, v6, v[5:6]
	v_lshlrev_b64 v[4:5], 3, v[4:5]
	s_waitcnt vmcnt(0)
	v_mul_f32_e32 v7, v3, v1
	v_mul_f32_e32 v1, v2, v1
	v_fmac_f32_e32 v7, v2, v0
	v_fma_f32 v2, v0, v3, -v1
	v_cvt_f64_f32_e32 v[0:1], v7
	v_cvt_f64_f32_e32 v[2:3], v2
	v_mul_f64 v[0:1], v[0:1], s[4:5]
	v_mul_f64 v[2:3], v[2:3], s[4:5]
	v_cvt_f32_f64_e32 v0, v[0:1]
	v_cvt_f32_f64_e32 v1, v[2:3]
	v_add_co_u32_e32 v2, vcc, v8, v4
	v_addc_co_u32_e32 v3, vcc, v9, v5, vcc
	global_store_dwordx2 v[2:3], v[0:1], off
.LBB0_15:
	s_endpgm
	.section	.rodata,"a",@progbits
	.p2align	6, 0x0
	.amdhsa_kernel bluestein_single_back_len187_dim1_sp_op_CI_CI
		.amdhsa_group_segment_fixed_size 10472
		.amdhsa_private_segment_fixed_size 0
		.amdhsa_kernarg_size 104
		.amdhsa_user_sgpr_count 6
		.amdhsa_user_sgpr_private_segment_buffer 1
		.amdhsa_user_sgpr_dispatch_ptr 0
		.amdhsa_user_sgpr_queue_ptr 0
		.amdhsa_user_sgpr_kernarg_segment_ptr 1
		.amdhsa_user_sgpr_dispatch_id 0
		.amdhsa_user_sgpr_flat_scratch_init 0
		.amdhsa_user_sgpr_private_segment_size 0
		.amdhsa_uses_dynamic_stack 0
		.amdhsa_system_sgpr_private_segment_wavefront_offset 0
		.amdhsa_system_sgpr_workgroup_id_x 1
		.amdhsa_system_sgpr_workgroup_id_y 0
		.amdhsa_system_sgpr_workgroup_id_z 0
		.amdhsa_system_sgpr_workgroup_info 0
		.amdhsa_system_vgpr_workitem_id 0
		.amdhsa_next_free_vgpr 255
		.amdhsa_next_free_sgpr 18
		.amdhsa_reserve_vcc 1
		.amdhsa_reserve_flat_scratch 0
		.amdhsa_float_round_mode_32 0
		.amdhsa_float_round_mode_16_64 0
		.amdhsa_float_denorm_mode_32 3
		.amdhsa_float_denorm_mode_16_64 3
		.amdhsa_dx10_clamp 1
		.amdhsa_ieee_mode 1
		.amdhsa_fp16_overflow 0
		.amdhsa_exception_fp_ieee_invalid_op 0
		.amdhsa_exception_fp_denorm_src 0
		.amdhsa_exception_fp_ieee_div_zero 0
		.amdhsa_exception_fp_ieee_overflow 0
		.amdhsa_exception_fp_ieee_underflow 0
		.amdhsa_exception_fp_ieee_inexact 0
		.amdhsa_exception_int_div_zero 0
	.end_amdhsa_kernel
	.text
.Lfunc_end0:
	.size	bluestein_single_back_len187_dim1_sp_op_CI_CI, .Lfunc_end0-bluestein_single_back_len187_dim1_sp_op_CI_CI
                                        ; -- End function
	.section	.AMDGPU.csdata,"",@progbits
; Kernel info:
; codeLenInByte = 18796
; NumSgprs: 22
; NumVgprs: 255
; ScratchSize: 0
; MemoryBound: 0
; FloatMode: 240
; IeeeMode: 1
; LDSByteSize: 10472 bytes/workgroup (compile time only)
; SGPRBlocks: 2
; VGPRBlocks: 63
; NumSGPRsForWavesPerEU: 22
; NumVGPRsForWavesPerEU: 255
; Occupancy: 1
; WaveLimiterHint : 1
; COMPUTE_PGM_RSRC2:SCRATCH_EN: 0
; COMPUTE_PGM_RSRC2:USER_SGPR: 6
; COMPUTE_PGM_RSRC2:TRAP_HANDLER: 0
; COMPUTE_PGM_RSRC2:TGID_X_EN: 1
; COMPUTE_PGM_RSRC2:TGID_Y_EN: 0
; COMPUTE_PGM_RSRC2:TGID_Z_EN: 0
; COMPUTE_PGM_RSRC2:TIDIG_COMP_CNT: 0
	.type	__hip_cuid_2d0327f2244b3eca,@object ; @__hip_cuid_2d0327f2244b3eca
	.section	.bss,"aw",@nobits
	.globl	__hip_cuid_2d0327f2244b3eca
__hip_cuid_2d0327f2244b3eca:
	.byte	0                               ; 0x0
	.size	__hip_cuid_2d0327f2244b3eca, 1

	.ident	"AMD clang version 19.0.0git (https://github.com/RadeonOpenCompute/llvm-project roc-6.4.0 25133 c7fe45cf4b819c5991fe208aaa96edf142730f1d)"
	.section	".note.GNU-stack","",@progbits
	.addrsig
	.addrsig_sym __hip_cuid_2d0327f2244b3eca
	.amdgpu_metadata
---
amdhsa.kernels:
  - .args:
      - .actual_access:  read_only
        .address_space:  global
        .offset:         0
        .size:           8
        .value_kind:     global_buffer
      - .actual_access:  read_only
        .address_space:  global
        .offset:         8
        .size:           8
        .value_kind:     global_buffer
      - .actual_access:  read_only
        .address_space:  global
        .offset:         16
        .size:           8
        .value_kind:     global_buffer
      - .actual_access:  read_only
        .address_space:  global
        .offset:         24
        .size:           8
        .value_kind:     global_buffer
      - .actual_access:  read_only
        .address_space:  global
        .offset:         32
        .size:           8
        .value_kind:     global_buffer
      - .offset:         40
        .size:           8
        .value_kind:     by_value
      - .address_space:  global
        .offset:         48
        .size:           8
        .value_kind:     global_buffer
      - .address_space:  global
        .offset:         56
        .size:           8
        .value_kind:     global_buffer
      - .address_space:  global
        .offset:         64
        .size:           8
        .value_kind:     global_buffer
      - .address_space:  global
        .offset:         72
        .size:           8
        .value_kind:     global_buffer
      - .offset:         80
        .size:           4
        .value_kind:     by_value
      - .address_space:  global
        .offset:         88
        .size:           8
        .value_kind:     global_buffer
      - .address_space:  global
        .offset:         96
        .size:           8
        .value_kind:     global_buffer
    .group_segment_fixed_size: 10472
    .kernarg_segment_align: 8
    .kernarg_segment_size: 104
    .language:       OpenCL C
    .language_version:
      - 2
      - 0
    .max_flat_workgroup_size: 119
    .name:           bluestein_single_back_len187_dim1_sp_op_CI_CI
    .private_segment_fixed_size: 0
    .sgpr_count:     22
    .sgpr_spill_count: 0
    .symbol:         bluestein_single_back_len187_dim1_sp_op_CI_CI.kd
    .uniform_work_group_size: 1
    .uses_dynamic_stack: false
    .vgpr_count:     255
    .vgpr_spill_count: 0
    .wavefront_size: 64
amdhsa.target:   amdgcn-amd-amdhsa--gfx906
amdhsa.version:
  - 1
  - 2
...

	.end_amdgpu_metadata
